;; amdgpu-corpus repo=ROCm/rocFFT kind=compiled arch=gfx906 opt=O3
	.text
	.amdgcn_target "amdgcn-amd-amdhsa--gfx906"
	.amdhsa_code_object_version 6
	.protected	fft_rtc_back_len480_factors_10_8_6_wgs_64_tpt_16_halfLds_sp_ip_CI_unitstride_sbrr_R2C_dirReg ; -- Begin function fft_rtc_back_len480_factors_10_8_6_wgs_64_tpt_16_halfLds_sp_ip_CI_unitstride_sbrr_R2C_dirReg
	.globl	fft_rtc_back_len480_factors_10_8_6_wgs_64_tpt_16_halfLds_sp_ip_CI_unitstride_sbrr_R2C_dirReg
	.p2align	8
	.type	fft_rtc_back_len480_factors_10_8_6_wgs_64_tpt_16_halfLds_sp_ip_CI_unitstride_sbrr_R2C_dirReg,@function
fft_rtc_back_len480_factors_10_8_6_wgs_64_tpt_16_halfLds_sp_ip_CI_unitstride_sbrr_R2C_dirReg: ; @fft_rtc_back_len480_factors_10_8_6_wgs_64_tpt_16_halfLds_sp_ip_CI_unitstride_sbrr_R2C_dirReg
; %bb.0:
	s_load_dwordx2 s[12:13], s[4:5], 0x50
	s_load_dwordx4 s[8:11], s[4:5], 0x0
	s_load_dwordx2 s[2:3], s[4:5], 0x18
	v_lshrrev_b32_e32 v9, 4, v0
	v_mov_b32_e32 v3, 0
	v_mov_b32_e32 v1, 0
	s_waitcnt lgkmcnt(0)
	v_cmp_lt_u64_e64 s[0:1], s[10:11], 2
	v_lshl_or_b32 v5, s6, 2, v9
	v_mov_b32_e32 v6, v3
	s_and_b64 vcc, exec, s[0:1]
	v_mov_b32_e32 v2, 0
	s_cbranch_vccnz .LBB0_8
; %bb.1:
	s_load_dwordx2 s[0:1], s[4:5], 0x10
	s_add_u32 s6, s2, 8
	s_addc_u32 s7, s3, 0
	v_mov_b32_e32 v1, 0
	v_mov_b32_e32 v2, 0
	s_waitcnt lgkmcnt(0)
	s_add_u32 s14, s0, 8
	s_addc_u32 s15, s1, 0
	s_mov_b64 s[16:17], 1
.LBB0_2:                                ; =>This Inner Loop Header: Depth=1
	s_load_dwordx2 s[18:19], s[14:15], 0x0
                                        ; implicit-def: $vgpr7_vgpr8
	s_waitcnt lgkmcnt(0)
	v_or_b32_e32 v4, s19, v6
	v_cmp_ne_u64_e32 vcc, 0, v[3:4]
	s_and_saveexec_b64 s[0:1], vcc
	s_xor_b64 s[20:21], exec, s[0:1]
	s_cbranch_execz .LBB0_4
; %bb.3:                                ;   in Loop: Header=BB0_2 Depth=1
	v_cvt_f32_u32_e32 v4, s18
	v_cvt_f32_u32_e32 v7, s19
	s_sub_u32 s0, 0, s18
	s_subb_u32 s1, 0, s19
	v_mac_f32_e32 v4, 0x4f800000, v7
	v_rcp_f32_e32 v4, v4
	v_mul_f32_e32 v4, 0x5f7ffffc, v4
	v_mul_f32_e32 v7, 0x2f800000, v4
	v_trunc_f32_e32 v7, v7
	v_mac_f32_e32 v4, 0xcf800000, v7
	v_cvt_u32_f32_e32 v7, v7
	v_cvt_u32_f32_e32 v4, v4
	v_mul_lo_u32 v8, s0, v7
	v_mul_hi_u32 v10, s0, v4
	v_mul_lo_u32 v12, s1, v4
	v_mul_lo_u32 v11, s0, v4
	v_add_u32_e32 v8, v10, v8
	v_add_u32_e32 v8, v8, v12
	v_mul_hi_u32 v10, v4, v11
	v_mul_lo_u32 v12, v4, v8
	v_mul_hi_u32 v14, v4, v8
	v_mul_hi_u32 v13, v7, v11
	v_mul_lo_u32 v11, v7, v11
	v_mul_hi_u32 v15, v7, v8
	v_add_co_u32_e32 v10, vcc, v10, v12
	v_addc_co_u32_e32 v12, vcc, 0, v14, vcc
	v_mul_lo_u32 v8, v7, v8
	v_add_co_u32_e32 v10, vcc, v10, v11
	v_addc_co_u32_e32 v10, vcc, v12, v13, vcc
	v_addc_co_u32_e32 v11, vcc, 0, v15, vcc
	v_add_co_u32_e32 v8, vcc, v10, v8
	v_addc_co_u32_e32 v10, vcc, 0, v11, vcc
	v_add_co_u32_e32 v4, vcc, v4, v8
	v_addc_co_u32_e32 v7, vcc, v7, v10, vcc
	v_mul_lo_u32 v8, s0, v7
	v_mul_hi_u32 v10, s0, v4
	v_mul_lo_u32 v11, s1, v4
	v_mul_lo_u32 v12, s0, v4
	v_add_u32_e32 v8, v10, v8
	v_add_u32_e32 v8, v8, v11
	v_mul_lo_u32 v13, v4, v8
	v_mul_hi_u32 v14, v4, v12
	v_mul_hi_u32 v15, v4, v8
	;; [unrolled: 1-line block ×3, first 2 shown]
	v_mul_lo_u32 v12, v7, v12
	v_mul_hi_u32 v10, v7, v8
	v_add_co_u32_e32 v13, vcc, v14, v13
	v_addc_co_u32_e32 v14, vcc, 0, v15, vcc
	v_mul_lo_u32 v8, v7, v8
	v_add_co_u32_e32 v12, vcc, v13, v12
	v_addc_co_u32_e32 v11, vcc, v14, v11, vcc
	v_addc_co_u32_e32 v10, vcc, 0, v10, vcc
	v_add_co_u32_e32 v8, vcc, v11, v8
	v_addc_co_u32_e32 v10, vcc, 0, v10, vcc
	v_add_co_u32_e32 v4, vcc, v4, v8
	v_addc_co_u32_e32 v10, vcc, v7, v10, vcc
	v_mad_u64_u32 v[7:8], s[0:1], v5, v10, 0
	v_mul_hi_u32 v11, v5, v4
	v_add_co_u32_e32 v12, vcc, v11, v7
	v_addc_co_u32_e32 v13, vcc, 0, v8, vcc
	v_mad_u64_u32 v[7:8], s[0:1], v6, v4, 0
	v_mad_u64_u32 v[10:11], s[0:1], v6, v10, 0
	v_add_co_u32_e32 v4, vcc, v12, v7
	v_addc_co_u32_e32 v4, vcc, v13, v8, vcc
	v_addc_co_u32_e32 v7, vcc, 0, v11, vcc
	v_add_co_u32_e32 v4, vcc, v4, v10
	v_addc_co_u32_e32 v10, vcc, 0, v7, vcc
	v_mul_lo_u32 v11, s19, v4
	v_mul_lo_u32 v12, s18, v10
	v_mad_u64_u32 v[7:8], s[0:1], s18, v4, 0
	v_add3_u32 v8, v8, v12, v11
	v_sub_u32_e32 v11, v6, v8
	v_mov_b32_e32 v12, s19
	v_sub_co_u32_e32 v7, vcc, v5, v7
	v_subb_co_u32_e64 v11, s[0:1], v11, v12, vcc
	v_subrev_co_u32_e64 v12, s[0:1], s18, v7
	v_subbrev_co_u32_e64 v11, s[0:1], 0, v11, s[0:1]
	v_cmp_le_u32_e64 s[0:1], s19, v11
	v_cndmask_b32_e64 v13, 0, -1, s[0:1]
	v_cmp_le_u32_e64 s[0:1], s18, v12
	v_cndmask_b32_e64 v12, 0, -1, s[0:1]
	v_cmp_eq_u32_e64 s[0:1], s19, v11
	v_cndmask_b32_e64 v11, v13, v12, s[0:1]
	v_add_co_u32_e64 v12, s[0:1], 2, v4
	v_addc_co_u32_e64 v13, s[0:1], 0, v10, s[0:1]
	v_add_co_u32_e64 v14, s[0:1], 1, v4
	v_addc_co_u32_e64 v15, s[0:1], 0, v10, s[0:1]
	v_subb_co_u32_e32 v8, vcc, v6, v8, vcc
	v_cmp_ne_u32_e64 s[0:1], 0, v11
	v_cmp_le_u32_e32 vcc, s19, v8
	v_cndmask_b32_e64 v11, v15, v13, s[0:1]
	v_cndmask_b32_e64 v13, 0, -1, vcc
	v_cmp_le_u32_e32 vcc, s18, v7
	v_cndmask_b32_e64 v7, 0, -1, vcc
	v_cmp_eq_u32_e32 vcc, s19, v8
	v_cndmask_b32_e32 v7, v13, v7, vcc
	v_cmp_ne_u32_e32 vcc, 0, v7
	v_cndmask_b32_e64 v7, v14, v12, s[0:1]
	v_cndmask_b32_e32 v8, v10, v11, vcc
	v_cndmask_b32_e32 v7, v4, v7, vcc
.LBB0_4:                                ;   in Loop: Header=BB0_2 Depth=1
	s_andn2_saveexec_b64 s[0:1], s[20:21]
	s_cbranch_execz .LBB0_6
; %bb.5:                                ;   in Loop: Header=BB0_2 Depth=1
	v_cvt_f32_u32_e32 v4, s18
	s_sub_i32 s20, 0, s18
	v_rcp_iflag_f32_e32 v4, v4
	v_mul_f32_e32 v4, 0x4f7ffffe, v4
	v_cvt_u32_f32_e32 v4, v4
	v_mul_lo_u32 v7, s20, v4
	v_mul_hi_u32 v7, v4, v7
	v_add_u32_e32 v4, v4, v7
	v_mul_hi_u32 v4, v5, v4
	v_mul_lo_u32 v7, v4, s18
	v_add_u32_e32 v8, 1, v4
	v_sub_u32_e32 v7, v5, v7
	v_subrev_u32_e32 v10, s18, v7
	v_cmp_le_u32_e32 vcc, s18, v7
	v_cndmask_b32_e32 v7, v7, v10, vcc
	v_cndmask_b32_e32 v4, v4, v8, vcc
	v_add_u32_e32 v8, 1, v4
	v_cmp_le_u32_e32 vcc, s18, v7
	v_cndmask_b32_e32 v7, v4, v8, vcc
	v_mov_b32_e32 v8, v3
.LBB0_6:                                ;   in Loop: Header=BB0_2 Depth=1
	s_or_b64 exec, exec, s[0:1]
	v_mul_lo_u32 v4, v8, s18
	v_mul_lo_u32 v12, v7, s19
	v_mad_u64_u32 v[10:11], s[0:1], v7, s18, 0
	s_load_dwordx2 s[0:1], s[6:7], 0x0
	s_add_u32 s16, s16, 1
	v_add3_u32 v4, v11, v12, v4
	v_sub_co_u32_e32 v5, vcc, v5, v10
	v_subb_co_u32_e32 v4, vcc, v6, v4, vcc
	s_waitcnt lgkmcnt(0)
	v_mul_lo_u32 v4, s0, v4
	v_mul_lo_u32 v6, s1, v5
	v_mad_u64_u32 v[1:2], s[0:1], s0, v5, v[1:2]
	s_addc_u32 s17, s17, 0
	s_add_u32 s6, s6, 8
	v_add3_u32 v2, v6, v2, v4
	v_mov_b32_e32 v4, s10
	v_mov_b32_e32 v5, s11
	s_addc_u32 s7, s7, 0
	v_cmp_ge_u64_e32 vcc, s[16:17], v[4:5]
	s_add_u32 s14, s14, 8
	s_addc_u32 s15, s15, 0
	s_cbranch_vccnz .LBB0_9
; %bb.7:                                ;   in Loop: Header=BB0_2 Depth=1
	v_mov_b32_e32 v5, v7
	v_mov_b32_e32 v6, v8
	s_branch .LBB0_2
.LBB0_8:
	v_mov_b32_e32 v8, v6
	v_mov_b32_e32 v7, v5
.LBB0_9:
	s_lshl_b64 s[0:1], s[10:11], 3
	s_add_u32 s0, s2, s0
	s_addc_u32 s1, s3, s1
	s_load_dwordx2 s[2:3], s[0:1], 0x0
	s_load_dwordx2 s[6:7], s[4:5], 0x20
	v_and_b32_e32 v56, 15, v0
	v_or_b32_e32 v61, 16, v56
	v_or_b32_e32 v63, 32, v56
	s_waitcnt lgkmcnt(0)
	v_mul_lo_u32 v3, s2, v8
	v_mul_lo_u32 v4, s3, v7
	v_mad_u64_u32 v[1:2], s[0:1], s2, v7, v[1:2]
	v_cmp_gt_u64_e32 vcc, s[6:7], v[7:8]
	v_cmp_le_u64_e64 s[0:1], s[6:7], v[7:8]
	v_add3_u32 v2, v4, v2, v3
	v_or_b32_e32 v60, 48, v56
	s_and_saveexec_b64 s[2:3], s[0:1]
	s_xor_b64 s[0:1], exec, s[2:3]
; %bb.10:
	v_or_b32_e32 v61, 16, v56
	v_or_b32_e32 v63, 32, v56
	;; [unrolled: 1-line block ×3, first 2 shown]
; %bb.11:
	s_or_saveexec_b64 s[2:3], s[0:1]
	v_mul_u32_u24_e32 v0, 0x1e1, v9
	v_lshlrev_b64 v[58:59], 3, v[1:2]
	v_lshlrev_b32_e32 v57, 3, v56
	v_lshlrev_b32_e32 v82, 3, v0
	s_xor_b64 exec, exec, s[2:3]
	s_cbranch_execz .LBB0_13
; %bb.12:
	v_mov_b32_e32 v0, s13
	v_add_co_u32_e64 v1, s[0:1], s12, v58
	v_addc_co_u32_e64 v2, s[0:1], v0, v59, s[0:1]
	v_add_co_u32_e64 v0, s[0:1], v1, v57
	v_addc_co_u32_e64 v1, s[0:1], 0, v2, s[0:1]
	global_load_dwordx2 v[2:3], v[0:1], off
	global_load_dwordx2 v[4:5], v[0:1], off offset:128
	global_load_dwordx2 v[6:7], v[0:1], off offset:256
	;; [unrolled: 1-line block ×29, first 2 shown]
	v_add3_u32 v0, 0, v82, v57
	v_add_u32_e32 v1, 0x800, v0
	s_waitcnt vmcnt(28)
	ds_write2_b64 v0, v[2:3], v[4:5] offset1:16
	s_waitcnt vmcnt(26)
	ds_write2_b64 v0, v[6:7], v[8:9] offset0:32 offset1:48
	s_waitcnt vmcnt(24)
	ds_write2_b64 v0, v[10:11], v[12:13] offset0:64 offset1:80
	;; [unrolled: 2-line block ×7, first 2 shown]
	s_waitcnt vmcnt(12)
	ds_write2_b64 v1, v[34:35], v[36:37] offset1:16
	s_waitcnt vmcnt(10)
	ds_write2_b64 v1, v[38:39], v[40:41] offset0:32 offset1:48
	s_waitcnt vmcnt(8)
	ds_write2_b64 v1, v[42:43], v[44:45] offset0:64 offset1:80
	;; [unrolled: 2-line block ×6, first 2 shown]
.LBB0_13:
	s_or_b64 exec, exec, s[2:3]
	v_add_u32_e32 v0, 0, v57
	v_add_u32_e32 v62, v0, v82
	s_waitcnt lgkmcnt(0)
	; wave barrier
	s_waitcnt lgkmcnt(0)
	ds_read2_b64 v[36:39], v62 offset0:48 offset1:64
	ds_read2_b64 v[0:3], v62 offset0:80 offset1:96
	ds_read2_b64 v[40:43], v62 offset0:144 offset1:160
	ds_read2_b64 v[8:11], v62 offset0:176 offset1:192
	v_add_u32_e32 v81, 0, v82
	v_add_u32_e32 v83, 0x400, v62
	;; [unrolled: 1-line block ×4, first 2 shown]
	ds_read2_b64 v[44:47], v83 offset0:112 offset1:128
	ds_read2_b64 v[12:15], v84 offset0:16 offset1:32
	ds_read2_b64 v[48:51], v84 offset0:80 offset1:96
	ds_read2_b64 v[16:19], v84 offset0:112 offset1:128
	ds_read2_b64 v[52:55], v84 offset0:176 offset1:192
	ds_read2_b64 v[4:7], v62 offset0:16 offset1:32
	ds_read2_b64 v[20:23], v62 offset0:112 offset1:128
	ds_read_b64 v[64:65], v80
	ds_read2_b64 v[24:27], v62 offset0:208 offset1:224
	ds_read2_b64 v[28:31], v84 offset0:48 offset1:64
	;; [unrolled: 1-line block ×3, first 2 shown]
	ds_read_b64 v[78:79], v62 offset:3712
	s_waitcnt lgkmcnt(4)
	v_add_f32_e32 v66, v64, v2
	v_add_f32_e32 v66, v66, v10
	;; [unrolled: 1-line block ×5, first 2 shown]
	v_fma_f32 v69, -0.5, v66, v64
	v_sub_f32_e32 v66, v3, v19
	v_mov_b32_e32 v70, v69
	v_fmac_f32_e32 v70, 0xbf737871, v66
	v_sub_f32_e32 v67, v11, v15
	v_sub_f32_e32 v71, v2, v10
	;; [unrolled: 1-line block ×3, first 2 shown]
	v_fmac_f32_e32 v69, 0x3f737871, v66
	v_fmac_f32_e32 v70, 0xbf167918, v67
	v_add_f32_e32 v71, v71, v72
	v_fmac_f32_e32 v69, 0x3f167918, v67
	v_fmac_f32_e32 v70, 0x3e9e377a, v71
	;; [unrolled: 1-line block ×3, first 2 shown]
	v_add_f32_e32 v71, v2, v18
	v_fma_f32 v64, -0.5, v71, v64
	v_mov_b32_e32 v71, v64
	v_fmac_f32_e32 v71, 0x3f737871, v67
	v_fmac_f32_e32 v64, 0xbf737871, v67
	;; [unrolled: 1-line block ×4, first 2 shown]
	v_add_f32_e32 v66, v65, v3
	v_add_f32_e32 v66, v66, v11
	v_sub_f32_e32 v72, v10, v2
	v_sub_f32_e32 v73, v14, v18
	v_add_f32_e32 v66, v66, v15
	v_add_f32_e32 v72, v72, v73
	;; [unrolled: 1-line block ×4, first 2 shown]
	v_fma_f32 v85, -0.5, v66, v65
	v_sub_f32_e32 v2, v2, v18
	v_mov_b32_e32 v18, v85
	v_fmac_f32_e32 v18, 0x3f737871, v2
	v_sub_f32_e32 v10, v10, v14
	v_sub_f32_e32 v14, v3, v11
	;; [unrolled: 1-line block ×3, first 2 shown]
	v_fmac_f32_e32 v85, 0xbf737871, v2
	v_fmac_f32_e32 v18, 0x3f167918, v10
	v_add_f32_e32 v14, v14, v66
	v_fmac_f32_e32 v85, 0xbf167918, v10
	v_fmac_f32_e32 v18, 0x3e9e377a, v14
	;; [unrolled: 1-line block ×3, first 2 shown]
	v_add_f32_e32 v14, v3, v19
	v_fmac_f32_e32 v65, -0.5, v14
	v_mov_b32_e32 v86, v65
	v_fmac_f32_e32 v86, 0xbf737871, v10
	v_fmac_f32_e32 v65, 0x3f737871, v10
	;; [unrolled: 1-line block ×4, first 2 shown]
	v_add_f32_e32 v2, v36, v40
	v_add_f32_e32 v2, v2, v44
	v_sub_f32_e32 v3, v11, v3
	v_sub_f32_e32 v11, v15, v19
	v_add_f32_e32 v2, v2, v48
	v_add_f32_e32 v3, v3, v11
	;; [unrolled: 1-line block ×4, first 2 shown]
	v_fmac_f32_e32 v86, 0x3e9e377a, v3
	v_fmac_f32_e32 v65, 0x3e9e377a, v3
	v_fma_f32 v3, -0.5, v2, v36
	v_sub_f32_e32 v2, v41, v53
	v_mov_b32_e32 v11, v3
	v_fmac_f32_e32 v11, 0xbf737871, v2
	v_sub_f32_e32 v10, v45, v49
	v_sub_f32_e32 v14, v40, v44
	;; [unrolled: 1-line block ×3, first 2 shown]
	v_fmac_f32_e32 v3, 0x3f737871, v2
	v_fmac_f32_e32 v11, 0xbf167918, v10
	v_add_f32_e32 v14, v14, v15
	v_fmac_f32_e32 v3, 0x3f167918, v10
	v_fmac_f32_e32 v11, 0x3e9e377a, v14
	v_fmac_f32_e32 v3, 0x3e9e377a, v14
	v_add_f32_e32 v14, v40, v52
	v_fma_f32 v15, -0.5, v14, v36
	v_mov_b32_e32 v36, v15
	v_fmac_f32_e32 v36, 0x3f737871, v10
	v_fmac_f32_e32 v15, 0xbf737871, v10
	;; [unrolled: 1-line block ×4, first 2 shown]
	v_add_f32_e32 v2, v37, v41
	v_add_f32_e32 v2, v2, v45
	;; [unrolled: 1-line block ×5, first 2 shown]
	v_fmac_f32_e32 v71, 0x3e9e377a, v72
	v_fmac_f32_e32 v64, 0x3e9e377a, v72
	v_sub_f32_e32 v14, v44, v40
	v_sub_f32_e32 v66, v48, v52
	v_fma_f32 v72, -0.5, v2, v37
	v_add_f32_e32 v14, v14, v66
	v_sub_f32_e32 v2, v40, v52
	v_mov_b32_e32 v40, v72
	v_fmac_f32_e32 v36, 0x3e9e377a, v14
	v_fmac_f32_e32 v15, 0x3e9e377a, v14
	;; [unrolled: 1-line block ×3, first 2 shown]
	v_sub_f32_e32 v10, v44, v48
	v_sub_f32_e32 v14, v41, v45
	;; [unrolled: 1-line block ×3, first 2 shown]
	v_fmac_f32_e32 v72, 0xbf737871, v2
	v_fmac_f32_e32 v40, 0x3f167918, v10
	v_add_f32_e32 v14, v14, v44
	v_fmac_f32_e32 v72, 0xbf167918, v10
	v_fmac_f32_e32 v40, 0x3e9e377a, v14
	v_fmac_f32_e32 v72, 0x3e9e377a, v14
	v_add_f32_e32 v14, v41, v53
	v_fma_f32 v37, -0.5, v14, v37
	v_mov_b32_e32 v44, v37
	v_fmac_f32_e32 v44, 0xbf737871, v10
	v_sub_f32_e32 v14, v45, v41
	v_sub_f32_e32 v41, v49, v53
	v_fmac_f32_e32 v44, 0x3f167918, v2
	v_add_f32_e32 v14, v14, v41
	v_fmac_f32_e32 v37, 0x3f737871, v10
	v_fmac_f32_e32 v44, 0x3e9e377a, v14
	;; [unrolled: 1-line block ×3, first 2 shown]
	v_mul_f32_e32 v52, 0x3f167918, v11
	v_fmac_f32_e32 v37, 0x3e9e377a, v14
	v_mul_f32_e32 v41, 0xbf167918, v40
	v_mul_f32_e32 v45, 0xbf737871, v44
	v_fmac_f32_e32 v52, 0x3f4f1bbd, v40
	v_mul_f32_e32 v40, 0x3e9e377a, v44
	v_add_f32_e32 v66, v68, v19
	v_fmac_f32_e32 v45, 0x3e9e377a, v36
	v_mul_f32_e32 v48, 0xbf737871, v37
	v_mul_f32_e32 v49, 0xbf167918, v72
	v_fmac_f32_e32 v40, 0x3f737871, v36
	v_mul_f32_e32 v36, 0xbe9e377a, v37
	v_mul_f32_e32 v37, 0xbf4f1bbd, v72
	v_sub_f32_e32 v74, v68, v19
	s_waitcnt lgkmcnt(2)
	v_add_f32_e32 v19, v24, v28
	v_fmac_f32_e32 v49, 0xbf4f1bbd, v3
	v_fmac_f32_e32 v36, 0x3f737871, v15
	;; [unrolled: 1-line block ×3, first 2 shown]
	v_fma_f32 v19, -0.5, v19, v4
	v_fmac_f32_e32 v41, 0x3f4f1bbd, v11
	v_fmac_f32_e32 v48, 0xbe9e377a, v15
	v_add_f32_e32 v2, v69, v49
	v_add_f32_e32 v15, v65, v36
	;; [unrolled: 1-line block ×3, first 2 shown]
	v_sub_f32_e32 v68, v69, v49
	v_sub_f32_e32 v65, v65, v36
	;; [unrolled: 1-line block ×3, first 2 shown]
	s_waitcnt lgkmcnt(1)
	v_sub_f32_e32 v36, v21, v33
	v_mov_b32_e32 v37, v19
	v_add_f32_e32 v76, v70, v41
	v_add_f32_e32 v67, v73, v75
	;; [unrolled: 1-line block ×3, first 2 shown]
	v_sub_f32_e32 v70, v70, v41
	v_sub_f32_e32 v75, v73, v75
	;; [unrolled: 1-line block ×3, first 2 shown]
	v_fmac_f32_e32 v37, 0xbf737871, v36
	v_sub_f32_e32 v40, v25, v29
	v_sub_f32_e32 v41, v20, v24
	;; [unrolled: 1-line block ×3, first 2 shown]
	v_fmac_f32_e32 v19, 0x3f737871, v36
	v_fmac_f32_e32 v37, 0xbf167918, v40
	v_add_f32_e32 v41, v41, v44
	v_fmac_f32_e32 v19, 0x3f167918, v40
	v_fmac_f32_e32 v37, 0x3e9e377a, v41
	;; [unrolled: 1-line block ×3, first 2 shown]
	v_add_f32_e32 v41, v20, v32
	v_add_f32_e32 v10, v71, v45
	;; [unrolled: 1-line block ×3, first 2 shown]
	v_sub_f32_e32 v72, v71, v45
	v_sub_f32_e32 v71, v18, v52
	v_add_f32_e32 v18, v4, v20
	v_fma_f32 v4, -0.5, v41, v4
	v_mov_b32_e32 v44, v4
	v_fmac_f32_e32 v44, 0x3f737871, v40
	v_fmac_f32_e32 v4, 0xbf737871, v40
	;; [unrolled: 1-line block ×4, first 2 shown]
	v_add_f32_e32 v36, v5, v21
	v_add_f32_e32 v36, v36, v25
	v_sub_f32_e32 v41, v24, v20
	v_sub_f32_e32 v45, v28, v32
	v_add_f32_e32 v36, v36, v29
	v_add_f32_e32 v41, v41, v45
	;; [unrolled: 1-line block ×5, first 2 shown]
	v_sub_f32_e32 v64, v64, v48
	v_add_f32_e32 v18, v18, v24
	v_fma_f32 v48, -0.5, v36, v5
	v_add_f32_e32 v18, v18, v28
	v_sub_f32_e32 v20, v20, v32
	v_mov_b32_e32 v49, v48
	v_add_f32_e32 v18, v18, v32
	v_fmac_f32_e32 v49, 0x3f737871, v20
	v_sub_f32_e32 v24, v24, v28
	v_sub_f32_e32 v28, v21, v25
	;; [unrolled: 1-line block ×3, first 2 shown]
	v_fmac_f32_e32 v48, 0xbf737871, v20
	v_fmac_f32_e32 v49, 0x3f167918, v24
	v_add_f32_e32 v28, v28, v32
	v_fmac_f32_e32 v48, 0xbf167918, v24
	v_fmac_f32_e32 v49, 0x3e9e377a, v28
	;; [unrolled: 1-line block ×3, first 2 shown]
	v_add_f32_e32 v28, v21, v33
	v_fma_f32 v5, -0.5, v28, v5
	v_mov_b32_e32 v52, v5
	v_fmac_f32_e32 v52, 0xbf737871, v24
	v_fmac_f32_e32 v5, 0x3f737871, v24
	;; [unrolled: 1-line block ×4, first 2 shown]
	v_add_f32_e32 v20, v38, v42
	v_add_f32_e32 v20, v20, v46
	v_sub_f32_e32 v21, v25, v21
	v_sub_f32_e32 v25, v29, v33
	v_add_f32_e32 v20, v20, v50
	v_add_f32_e32 v21, v21, v25
	;; [unrolled: 1-line block ×4, first 2 shown]
	v_fmac_f32_e32 v52, 0x3e9e377a, v21
	v_fmac_f32_e32 v5, 0x3e9e377a, v21
	v_fma_f32 v21, -0.5, v20, v38
	v_sub_f32_e32 v20, v43, v55
	v_mov_b32_e32 v25, v21
	v_fmac_f32_e32 v25, 0xbf737871, v20
	v_sub_f32_e32 v28, v47, v51
	v_sub_f32_e32 v29, v42, v46
	;; [unrolled: 1-line block ×3, first 2 shown]
	v_fmac_f32_e32 v21, 0x3f737871, v20
	v_fmac_f32_e32 v25, 0xbf167918, v28
	v_add_f32_e32 v29, v29, v32
	v_fmac_f32_e32 v21, 0x3f167918, v28
	v_fmac_f32_e32 v25, 0x3e9e377a, v29
	v_fmac_f32_e32 v21, 0x3e9e377a, v29
	v_add_f32_e32 v29, v42, v54
	v_fma_f32 v29, -0.5, v29, v38
	v_mov_b32_e32 v32, v29
	v_fmac_f32_e32 v32, 0x3f737871, v28
	v_fmac_f32_e32 v29, 0xbf737871, v28
	;; [unrolled: 1-line block ×4, first 2 shown]
	v_add_f32_e32 v20, v39, v43
	v_sub_f32_e32 v33, v46, v42
	v_sub_f32_e32 v36, v50, v54
	v_add_f32_e32 v20, v20, v47
	v_add_f32_e32 v33, v33, v36
	;; [unrolled: 1-line block ×3, first 2 shown]
	v_fmac_f32_e32 v32, 0x3e9e377a, v33
	v_fmac_f32_e32 v29, 0x3e9e377a, v33
	v_add_f32_e32 v33, v20, v55
	v_add_f32_e32 v20, v47, v51
	v_fma_f32 v28, -0.5, v20, v39
	v_sub_f32_e32 v20, v42, v54
	v_mov_b32_e32 v36, v28
	v_fmac_f32_e32 v44, 0x3e9e377a, v41
	v_fmac_f32_e32 v4, 0x3e9e377a, v41
	;; [unrolled: 1-line block ×3, first 2 shown]
	v_sub_f32_e32 v38, v46, v50
	v_sub_f32_e32 v40, v43, v47
	v_sub_f32_e32 v41, v55, v51
	v_fmac_f32_e32 v28, 0xbf737871, v20
	v_fmac_f32_e32 v36, 0x3f167918, v38
	v_add_f32_e32 v40, v40, v41
	v_fmac_f32_e32 v28, 0xbf167918, v38
	v_fmac_f32_e32 v36, 0x3e9e377a, v40
	;; [unrolled: 1-line block ×3, first 2 shown]
	v_add_f32_e32 v40, v43, v55
	v_fmac_f32_e32 v39, -0.5, v40
	v_mov_b32_e32 v41, v39
	v_sub_f32_e32 v40, v47, v43
	v_sub_f32_e32 v42, v51, v55
	v_fmac_f32_e32 v39, 0x3f737871, v38
	v_add_f32_e32 v40, v40, v42
	v_fmac_f32_e32 v39, 0xbf167918, v20
	v_fmac_f32_e32 v39, 0x3e9e377a, v40
	v_mul_f32_e32 v46, 0xbf167918, v36
	v_mul_f32_e32 v50, 0xbf737871, v39
	v_fmac_f32_e32 v41, 0xbf737871, v38
	v_fmac_f32_e32 v46, 0x3f4f1bbd, v25
	v_fmac_f32_e32 v50, 0xbe9e377a, v29
	v_mul_f32_e32 v25, 0x3f167918, v25
	v_fmac_f32_e32 v41, 0x3f167918, v20
	v_add_f32_e32 v42, v18, v24
	v_add_f32_e32 v38, v4, v50
	v_fmac_f32_e32 v25, 0x3f4f1bbd, v36
	v_sub_f32_e32 v36, v18, v24
	v_sub_f32_e32 v18, v4, v50
	v_add_f32_e32 v4, v6, v22
	v_fmac_f32_e32 v41, 0x3e9e377a, v40
	v_add_f32_e32 v4, v4, v26
	v_mul_f32_e32 v47, 0xbf737871, v41
	v_add_f32_e32 v4, v4, v30
	v_add_f32_e32 v54, v37, v46
	v_fmac_f32_e32 v47, 0x3e9e377a, v32
	v_mul_f32_e32 v51, 0xbf167918, v28
	v_mul_f32_e32 v53, 0x3e9e377a, v41
	;; [unrolled: 1-line block ×3, first 2 shown]
	v_sub_f32_e32 v28, v37, v46
	v_add_f32_e32 v46, v4, v34
	v_add_f32_e32 v4, v26, v30
	;; [unrolled: 1-line block ×3, first 2 shown]
	v_fmac_f32_e32 v53, 0x3f737871, v32
	v_mul_f32_e32 v85, 0xbe9e377a, v39
	v_fmac_f32_e32 v86, 0x3f167918, v21
	v_sub_f32_e32 v32, v44, v47
	v_fma_f32 v47, -0.5, v4, v6
	v_fmac_f32_e32 v51, 0xbf4f1bbd, v21
	v_add_f32_e32 v55, v49, v25
	v_fmac_f32_e32 v85, 0x3f737871, v29
	v_add_f32_e32 v21, v48, v86
	v_sub_f32_e32 v29, v49, v25
	v_sub_f32_e32 v25, v48, v86
	;; [unrolled: 1-line block ×3, first 2 shown]
	v_mov_b32_e32 v48, v47
	v_add_f32_e32 v20, v19, v51
	v_add_f32_e32 v43, v45, v33
	;; [unrolled: 1-line block ×3, first 2 shown]
	v_sub_f32_e32 v24, v19, v51
	v_sub_f32_e32 v37, v45, v33
	;; [unrolled: 1-line block ×3, first 2 shown]
	v_fmac_f32_e32 v48, 0xbf737871, v4
	v_sub_f32_e32 v5, v27, v31
	v_sub_f32_e32 v44, v22, v26
	;; [unrolled: 1-line block ×3, first 2 shown]
	v_fmac_f32_e32 v47, 0x3f737871, v4
	v_fmac_f32_e32 v48, 0xbf167918, v5
	v_add_f32_e32 v44, v44, v45
	v_fmac_f32_e32 v47, 0x3f167918, v5
	v_fmac_f32_e32 v48, 0x3e9e377a, v44
	;; [unrolled: 1-line block ×3, first 2 shown]
	v_add_f32_e32 v44, v22, v34
	v_fma_f32 v6, -0.5, v44, v6
	v_mov_b32_e32 v49, v6
	v_fmac_f32_e32 v49, 0x3f737871, v5
	v_fmac_f32_e32 v6, 0xbf737871, v5
	;; [unrolled: 1-line block ×4, first 2 shown]
	v_add_f32_e32 v4, v7, v23
	v_add_f32_e32 v4, v4, v27
	;; [unrolled: 1-line block ×5, first 2 shown]
	v_fma_f32 v85, -0.5, v4, v7
	v_sub_f32_e32 v44, v26, v22
	v_sub_f32_e32 v4, v22, v34
	v_mov_b32_e32 v22, v85
	v_sub_f32_e32 v45, v30, v34
	v_fmac_f32_e32 v22, 0x3f737871, v4
	v_sub_f32_e32 v5, v26, v30
	v_sub_f32_e32 v26, v23, v27
	;; [unrolled: 1-line block ×3, first 2 shown]
	v_fmac_f32_e32 v85, 0xbf737871, v4
	v_fmac_f32_e32 v22, 0x3f167918, v5
	v_add_f32_e32 v26, v26, v30
	v_fmac_f32_e32 v85, 0xbf167918, v5
	v_fmac_f32_e32 v22, 0x3e9e377a, v26
	;; [unrolled: 1-line block ×3, first 2 shown]
	v_add_f32_e32 v26, v23, v35
	v_fmac_f32_e32 v7, -0.5, v26
	v_mov_b32_e32 v26, v7
	v_fmac_f32_e32 v26, 0xbf737871, v5
	v_fmac_f32_e32 v7, 0x3f737871, v5
	;; [unrolled: 1-line block ×4, first 2 shown]
	v_add_f32_e32 v4, v0, v8
	v_sub_f32_e32 v23, v27, v23
	v_sub_f32_e32 v27, v31, v35
	v_add_f32_e32 v4, v4, v12
	v_add_f32_e32 v23, v23, v27
	;; [unrolled: 1-line block ×3, first 2 shown]
	v_fmac_f32_e32 v26, 0x3e9e377a, v23
	v_fmac_f32_e32 v7, 0x3e9e377a, v23
	s_waitcnt lgkmcnt(0)
	v_add_f32_e32 v23, v4, v78
	v_add_f32_e32 v4, v12, v16
	v_fma_f32 v27, -0.5, v4, v0
	v_sub_f32_e32 v4, v9, v79
	v_mov_b32_e32 v5, v27
	v_fmac_f32_e32 v5, 0xbf737871, v4
	v_sub_f32_e32 v30, v13, v17
	v_sub_f32_e32 v31, v8, v12
	;; [unrolled: 1-line block ×3, first 2 shown]
	v_fmac_f32_e32 v27, 0x3f737871, v4
	v_fmac_f32_e32 v5, 0xbf167918, v30
	v_add_f32_e32 v31, v31, v34
	v_fmac_f32_e32 v27, 0x3f167918, v30
	v_fmac_f32_e32 v5, 0x3e9e377a, v31
	;; [unrolled: 1-line block ×3, first 2 shown]
	v_add_f32_e32 v31, v8, v78
	v_fma_f32 v0, -0.5, v31, v0
	v_mov_b32_e32 v31, v0
	v_fmac_f32_e32 v31, 0x3f737871, v30
	v_fmac_f32_e32 v0, 0xbf737871, v30
	;; [unrolled: 1-line block ×4, first 2 shown]
	v_add_f32_e32 v4, v1, v9
	v_add_f32_e32 v4, v4, v13
	v_sub_f32_e32 v34, v12, v8
	v_sub_f32_e32 v35, v16, v78
	v_add_f32_e32 v4, v4, v17
	v_add_f32_e32 v34, v34, v35
	;; [unrolled: 1-line block ×4, first 2 shown]
	v_fmac_f32_e32 v31, 0x3e9e377a, v34
	v_fmac_f32_e32 v0, 0x3e9e377a, v34
	v_fma_f32 v34, -0.5, v4, v1
	v_sub_f32_e32 v4, v8, v78
	v_mov_b32_e32 v35, v34
	v_fmac_f32_e32 v35, 0x3f737871, v4
	v_sub_f32_e32 v8, v12, v16
	v_sub_f32_e32 v12, v9, v13
	;; [unrolled: 1-line block ×3, first 2 shown]
	v_fmac_f32_e32 v34, 0xbf737871, v4
	v_fmac_f32_e32 v35, 0x3f167918, v8
	v_add_f32_e32 v12, v12, v16
	v_fmac_f32_e32 v34, 0xbf167918, v8
	v_fmac_f32_e32 v35, 0x3e9e377a, v12
	;; [unrolled: 1-line block ×3, first 2 shown]
	v_add_f32_e32 v12, v9, v79
	v_fmac_f32_e32 v1, -0.5, v12
	v_add_f32_e32 v44, v44, v45
	v_mov_b32_e32 v45, v1
	v_sub_f32_e32 v9, v13, v9
	v_sub_f32_e32 v12, v17, v79
	v_fmac_f32_e32 v1, 0x3f737871, v8
	v_add_f32_e32 v9, v9, v12
	v_fmac_f32_e32 v1, 0xbf167918, v4
	v_fmac_f32_e32 v1, 0x3e9e377a, v9
	v_add_f32_e32 v41, v52, v53
	v_sub_f32_e32 v33, v52, v53
	v_mul_f32_e32 v50, 0xbf167918, v35
	v_mul_f32_e32 v53, 0xbf737871, v1
	v_fmac_f32_e32 v6, 0x3e9e377a, v44
	v_fmac_f32_e32 v50, 0x3f4f1bbd, v5
	v_fmac_f32_e32 v53, 0xbe9e377a, v0
	v_fmac_f32_e32 v45, 0xbf737871, v8
	v_add_f32_e32 v16, v48, v50
	v_add_f32_e32 v8, v6, v53
	v_sub_f32_e32 v48, v48, v50
	v_sub_f32_e32 v50, v6, v53
	v_mul_u32_u24_e32 v6, 10, v56
	v_fmac_f32_e32 v45, 0x3f167918, v4
	v_lshl_add_u32 v6, v6, 3, v81
	v_fmac_f32_e32 v45, 0x3e9e377a, v9
	v_mul_f32_e32 v79, 0x3f167918, v5
	s_waitcnt lgkmcnt(0)
	; wave barrier
	ds_write2_b64 v6, v[66:67], v[76:77] offset1:1
	ds_write2_b64 v6, v[10:11], v[14:15] offset0:2 offset1:3
	ds_write2_b64 v6, v[2:3], v[74:75] offset0:4 offset1:5
	;; [unrolled: 1-line block ×4, first 2 shown]
	v_mul_i32_i24_e32 v2, 10, v61
	v_mul_f32_e32 v52, 0xbf737871, v45
	v_fmac_f32_e32 v79, 0x3f4f1bbd, v35
	v_mul_f32_e32 v35, 0x3e9e377a, v45
	v_mul_f32_e32 v1, 0xbe9e377a, v1
	v_lshl_add_u32 v2, v2, 3, v81
	v_fmac_f32_e32 v49, 0x3e9e377a, v44
	v_fmac_f32_e32 v52, 0x3e9e377a, v31
	v_mul_f32_e32 v78, 0xbf167918, v34
	v_fmac_f32_e32 v35, 0x3f737871, v31
	v_fmac_f32_e32 v1, 0x3f737871, v0
	v_mul_f32_e32 v31, 0xbf4f1bbd, v34
	ds_write2_b64 v2, v[42:43], v[54:55] offset1:1
	ds_write2_b64 v2, v[40:41], v[38:39] offset0:2 offset1:3
	ds_write2_b64 v2, v[20:21], v[36:37] offset0:4 offset1:5
	;; [unrolled: 1-line block ×4, first 2 shown]
	v_mul_i32_i24_e32 v2, 10, v63
	v_add_f32_e32 v12, v46, v23
	v_add_f32_e32 v4, v49, v52
	v_fmac_f32_e32 v78, 0xbf4f1bbd, v27
	v_add_f32_e32 v13, v51, v30
	v_add_f32_e32 v17, v22, v79
	;; [unrolled: 1-line block ×4, first 2 shown]
	v_fmac_f32_e32 v31, 0x3f167918, v27
	v_lshl_add_u32 v2, v2, 3, v81
	v_lshl_add_u32 v74, v61, 3, v81
	v_add_f32_e32 v44, v47, v78
	v_add_f32_e32 v45, v85, v31
	v_sub_f32_e32 v46, v46, v23
	v_sub_f32_e32 v52, v49, v52
	;; [unrolled: 1-line block ×8, first 2 shown]
	ds_write2_b64 v2, v[12:13], v[16:17] offset1:1
	ds_write2_b64 v2, v[4:5], v[8:9] offset0:2 offset1:3
	ds_write2_b64 v2, v[44:45], v[46:47] offset0:4 offset1:5
	;; [unrolled: 1-line block ×4, first 2 shown]
	s_waitcnt lgkmcnt(0)
	; wave barrier
	s_waitcnt lgkmcnt(0)
	ds_read_b64 v[70:71], v80
	ds_read2_b64 v[40:43], v62 offset0:60 offset1:76
	ds_read2_b64 v[32:35], v62 offset0:92 offset1:120
	;; [unrolled: 1-line block ×6, first 2 shown]
	ds_read_b64 v[68:69], v74
	ds_read_b32 v79, v62 offset:3364
	ds_read_b64 v[72:73], v62 offset:3360
	ds_read2_b64 v[36:39], v62 offset0:136 offset1:152
	ds_read2_b64 v[24:27], v84 offset1:16
	ds_read2_b64 v[12:15], v84 offset0:120 offset1:136
	ds_read2_b64 v[4:7], v84 offset0:180 offset1:196
	s_waitcnt lgkmcnt(4)
	v_lshl_add_u32 v73, v63, 3, v81
	ds_read_b64 v[66:67], v73
	v_cmp_gt_u32_e64 s[0:1], 12, v56
	v_lshlrev_b32_e32 v75, 3, v60
                                        ; implicit-def: $vgpr3
                                        ; implicit-def: $vgpr65
	s_and_saveexec_b64 s[2:3], s[0:1]
	s_cbranch_execz .LBB0_15
; %bb.14:
	v_add3_u32 v44, 0, v75, v82
	ds_read2_b64 v[46:49], v62 offset0:108 offset1:168
	ds_read2_b64 v[52:55], v83 offset0:100 offset1:160
	;; [unrolled: 1-line block ×3, first 2 shown]
	ds_read_b64 v[44:45], v44
	ds_read_b64 v[64:65], v62 offset:3744
	s_waitcnt lgkmcnt(3)
	v_mov_b32_e32 v51, v55
	v_mov_b32_e32 v50, v54
.LBB0_15:
	s_or_b64 exec, exec, s[2:3]
	v_add_u32_e32 v54, -10, v56
	v_cmp_gt_u32_e64 s[2:3], 10, v56
	v_cndmask_b32_e64 v76, v54, v56, s[2:3]
	v_mul_i32_i24_e32 v54, 7, v76
	v_mov_b32_e32 v55, 0
	v_lshlrev_b64 v[77:78], 3, v[54:55]
	v_mov_b32_e32 v54, s9
	v_add_co_u32_e64 v87, s[2:3], s8, v77
	v_addc_co_u32_e64 v88, s[2:3], v54, v78, s[2:3]
	global_load_dwordx4 v[83:86], v[87:88], off
	s_movk_i32 s4, 0xcd
	v_mul_lo_u16_sdwa v77, v61, s4 dst_sel:DWORD dst_unused:UNUSED_PAD src0_sel:BYTE_0 src1_sel:DWORD
	v_lshrrev_b16_e32 v77, 11, v77
	v_mul_lo_u16_e32 v78, 10, v77
	v_sub_u16_e32 v78, v61, v78
	v_mov_b32_e32 v54, 3
	v_mul_lo_u16_e32 v89, 7, v78
	v_lshlrev_b32_sdwa v89, v54, v89 dst_sel:DWORD dst_unused:UNUSED_PAD src0_sel:DWORD src1_sel:BYTE_0
	v_cmp_lt_u32_e64 s[2:3], 9, v56
	s_waitcnt vmcnt(0)
	v_mul_f32_e32 v90, v84, v41
	v_mul_f32_e32 v84, v84, v40
	;; [unrolled: 1-line block ×4, first 2 shown]
	v_fmac_f32_e32 v90, v83, v40
	v_fma_f32 v92, v83, v41, -v84
	v_fmac_f32_e32 v91, v85, v34
	v_fma_f32 v93, v85, v35, -v86
	global_load_dwordx4 v[83:86], v89, s[8:9]
	v_mul_lo_u16_sdwa v35, v63, s4 dst_sel:DWORD dst_unused:UNUSED_PAD src0_sel:BYTE_0 src1_sel:DWORD
	v_lshrrev_b16_e32 v35, 11, v35
	s_waitcnt vmcnt(0)
	v_mul_f32_e32 v94, v84, v43
	v_mul_f32_e32 v34, v84, v42
	s_waitcnt lgkmcnt(4)
	v_mul_f32_e32 v84, v37, v86
	v_fmac_f32_e32 v94, v83, v42
	v_fma_f32 v83, v83, v43, -v34
	v_mul_f32_e32 v34, v36, v86
	v_fmac_f32_e32 v84, v36, v85
	v_mul_lo_u16_e32 v36, 10, v35
	v_fma_f32 v85, v37, v85, -v34
	v_mov_b32_e32 v34, 7
	v_sub_u16_e32 v36, v63, v36
	v_mul_u32_u24_sdwa v37, v36, v34 dst_sel:DWORD dst_unused:UNUSED_PAD src0_sel:BYTE_0 src1_sel:DWORD
	v_lshlrev_b32_e32 v86, 3, v37
	global_load_dwordx4 v[40:43], v86, s[8:9]
	s_waitcnt vmcnt(0)
	v_mul_f32_e32 v95, v33, v41
	v_fmac_f32_e32 v95, v32, v40
	v_mul_f32_e32 v32, v32, v41
	v_fma_f32 v41, v33, v40, -v32
	v_mul_f32_e32 v96, v39, v43
	v_mul_f32_e32 v32, v38, v43
	v_fmac_f32_e32 v96, v38, v42
	v_fma_f32 v42, v39, v42, -v32
	global_load_dwordx4 v[37:40], v[87:88], off offset:16
	s_waitcnt vmcnt(0)
	v_mul_f32_e32 v32, v38, v29
	v_fmac_f32_e32 v32, v37, v28
	v_mul_f32_e32 v28, v38, v28
	v_fma_f32 v28, v37, v29, -v28
	v_mul_f32_e32 v29, v40, v23
	v_fmac_f32_e32 v29, v39, v22
	v_mul_f32_e32 v22, v40, v22
	v_fma_f32 v33, v39, v23, -v22
	global_load_dwordx4 v[37:40], v89, s[8:9] offset:16
	s_waitcnt vmcnt(0)
	v_mul_f32_e32 v43, v31, v38
	v_mul_f32_e32 v22, v30, v38
	v_fmac_f32_e32 v43, v30, v37
	v_fma_f32 v30, v31, v37, -v22
	s_waitcnt lgkmcnt(3)
	v_mul_f32_e32 v31, v25, v40
	v_mul_f32_e32 v22, v24, v40
	v_fmac_f32_e32 v31, v24, v39
	v_fma_f32 v37, v25, v39, -v22
	global_load_dwordx4 v[22:25], v86, s[8:9] offset:16
	s_waitcnt vmcnt(0)
	v_mul_f32_e32 v39, v21, v23
	v_fmac_f32_e32 v39, v20, v22
	v_mul_f32_e32 v20, v20, v23
	v_fma_f32 v40, v21, v22, -v20
	v_mul_f32_e32 v20, v26, v25
	v_fma_f32 v98, v27, v24, -v20
	global_load_dwordx4 v[20:23], v[87:88], off offset:32
	v_mul_f32_e32 v97, v27, v25
	v_fmac_f32_e32 v97, v26, v24
	s_waitcnt vmcnt(0)
	v_mul_f32_e32 v24, v21, v17
	v_fmac_f32_e32 v24, v20, v16
	v_mul_f32_e32 v16, v21, v16
	v_fma_f32 v16, v20, v17, -v16
	v_mul_f32_e32 v17, v23, v11
	v_fmac_f32_e32 v17, v22, v10
	v_mul_f32_e32 v10, v23, v10
	v_fma_f32 v25, v22, v11, -v10
	global_load_dwordx4 v[20:23], v89, s[8:9] offset:32
	s_waitcnt vmcnt(0)
	v_mul_f32_e32 v26, v19, v21
	v_mul_f32_e32 v10, v18, v21
	v_fmac_f32_e32 v26, v18, v20
	v_fma_f32 v20, v19, v20, -v10
	s_waitcnt lgkmcnt(2)
	v_mul_f32_e32 v21, v13, v23
	v_mul_f32_e32 v10, v12, v23
	v_fmac_f32_e32 v21, v12, v22
	v_fma_f32 v22, v13, v22, -v10
	global_load_dwordx4 v[10:13], v86, s[8:9] offset:32
	v_sub_f32_e32 v21, v84, v21
	v_sub_f32_e32 v22, v85, v22
	;; [unrolled: 1-line block ×4, first 2 shown]
	s_waitcnt vmcnt(0)
	v_mul_f32_e32 v99, v9, v11
	v_fmac_f32_e32 v99, v8, v10
	v_mul_f32_e32 v8, v8, v11
	v_fma_f32 v100, v9, v10, -v8
	v_mul_f32_e32 v101, v15, v13
	v_mul_f32_e32 v8, v14, v13
	v_fmac_f32_e32 v101, v14, v12
	v_fma_f32 v102, v15, v12, -v8
	global_load_dwordx2 v[8:9], v[87:88], off offset:48
	global_load_dwordx2 v[10:11], v89, s[8:9] offset:48
	global_load_dwordx2 v[12:13], v86, s[8:9] offset:48
	v_sub_f32_e32 v15, v92, v16
	s_waitcnt lgkmcnt(0)
	; wave barrier
	s_waitcnt vmcnt(2) lgkmcnt(0)
	v_mul_f32_e32 v14, v79, v9
	s_waitcnt vmcnt(1)
	v_mul_f32_e32 v23, v5, v11
	v_fmac_f32_e32 v23, v4, v10
	v_mul_f32_e32 v4, v4, v11
	v_mul_f32_e32 v9, v9, v72
	v_fma_f32 v27, v5, v10, -v4
	s_waitcnt vmcnt(0)
	v_mul_f32_e32 v4, v6, v13
	v_fmac_f32_e32 v14, v8, v72
	v_fma_f32 v8, v79, v8, -v9
	v_mul_f32_e32 v72, v7, v13
	v_fma_f32 v79, v7, v12, -v4
	v_sub_f32_e32 v4, v70, v29
	v_sub_f32_e32 v5, v71, v33
	v_sub_f32_e32 v9, v91, v17
	v_fmac_f32_e32 v72, v6, v12
	v_fma_f32 v6, v70, 2.0, -v4
	v_sub_f32_e32 v10, v93, v25
	v_fma_f32 v11, v91, 2.0, -v9
	v_sub_f32_e32 v13, v90, v24
	v_sub_f32_e32 v14, v32, v14
	;; [unrolled: 1-line block ×4, first 2 shown]
	v_fma_f32 v7, v71, 2.0, -v5
	v_fma_f32 v12, v93, 2.0, -v10
	;; [unrolled: 1-line block ×6, first 2 shown]
	v_sub_f32_e32 v24, v6, v11
	v_add_f32_e32 v28, v4, v10
	v_fma_f32 v11, v5, 2.0, -v29
	v_sub_f32_e32 v32, v15, v14
	v_sub_f32_e32 v25, v7, v12
	v_fma_f32 v10, v4, 2.0, -v28
	v_sub_f32_e32 v18, v16, v18
	v_sub_f32_e32 v12, v17, v19
	v_add_f32_e32 v19, v13, v8
	v_fma_f32 v14, v15, 2.0, -v32
	v_mov_b32_e32 v9, v11
	v_fma_f32 v4, v16, 2.0, -v18
	v_fma_f32 v5, v17, 2.0, -v12
	;; [unrolled: 1-line block ×3, first 2 shown]
	v_mov_b32_e32 v8, v10
	v_fmac_f32_e32 v9, 0xbf3504f3, v14
	v_mov_b32_e32 v16, v28
	v_mov_b32_e32 v17, v29
	v_fmac_f32_e32 v8, 0xbf3504f3, v13
	v_fmac_f32_e32 v9, 0xbf3504f3, v13
	v_add_f32_e32 v12, v24, v12
	v_sub_f32_e32 v13, v25, v18
	v_fmac_f32_e32 v16, 0x3f3504f3, v19
	v_fmac_f32_e32 v17, 0x3f3504f3, v32
	v_fma_f32 v6, v6, 2.0, -v24
	v_fma_f32 v7, v7, 2.0, -v25
	v_fmac_f32_e32 v8, 0x3f3504f3, v14
	v_fma_f32 v14, v24, 2.0, -v12
	v_fma_f32 v15, v25, 2.0, -v13
	v_fmac_f32_e32 v16, 0x3f3504f3, v32
	v_fmac_f32_e32 v17, 0xbf3504f3, v19
	v_sub_f32_e32 v24, v68, v31
	v_sub_f32_e32 v25, v69, v37
	v_sub_f32_e32 v23, v43, v23
	v_sub_f32_e32 v27, v30, v27
	v_fma_f32 v18, v28, 2.0, -v16
	v_fma_f32 v19, v29, 2.0, -v17
	v_fma_f32 v28, v68, 2.0, -v24
	v_fma_f32 v29, v69, 2.0, -v25
	v_fma_f32 v31, v84, 2.0, -v21
	v_fma_f32 v32, v85, 2.0, -v22
	v_fma_f32 v33, v94, 2.0, -v26
	v_fma_f32 v37, v83, 2.0, -v20
	v_fma_f32 v38, v43, 2.0, -v23
	v_fma_f32 v30, v30, 2.0, -v27
	v_sub_f32_e32 v31, v28, v31
	v_sub_f32_e32 v32, v29, v32
	v_sub_f32_e32 v38, v33, v38
	v_sub_f32_e32 v30, v37, v30
	v_fma_f32 v28, v28, 2.0, -v31
	v_fma_f32 v29, v29, 2.0, -v32
	v_add_f32_e32 v43, v24, v22
	v_sub_f32_e32 v68, v25, v21
	v_fma_f32 v21, v33, 2.0, -v38
	v_fma_f32 v22, v37, 2.0, -v30
	v_sub_f32_e32 v71, v20, v23
	v_add_f32_e32 v37, v26, v27
	v_fma_f32 v27, v20, 2.0, -v71
	v_sub_f32_e32 v20, v28, v21
	v_sub_f32_e32 v21, v29, v22
	v_fma_f32 v69, v24, 2.0, -v43
	v_fma_f32 v70, v25, 2.0, -v68
	v_fma_f32 v22, v28, 2.0, -v20
	v_fma_f32 v23, v29, 2.0, -v21
	v_add_f32_e32 v28, v31, v30
	v_sub_f32_e32 v29, v32, v38
	v_fma_f32 v26, v26, 2.0, -v37
	v_mov_b32_e32 v24, v69
	v_mov_b32_e32 v25, v70
	v_fma_f32 v30, v31, 2.0, -v28
	v_fma_f32 v31, v32, 2.0, -v29
	v_mov_b32_e32 v32, v43
	v_mov_b32_e32 v33, v68
	v_fmac_f32_e32 v24, 0xbf3504f3, v26
	v_fmac_f32_e32 v25, 0xbf3504f3, v27
	;; [unrolled: 1-line block ×8, first 2 shown]
	v_fma_f32 v26, v69, 2.0, -v24
	v_fma_f32 v27, v70, 2.0, -v25
	;; [unrolled: 1-line block ×4, first 2 shown]
	v_sub_f32_e32 v43, v66, v97
	v_sub_f32_e32 v68, v67, v98
	;; [unrolled: 1-line block ×8, first 2 shown]
	v_fma_f32 v66, v66, 2.0, -v43
	v_fma_f32 v67, v67, 2.0, -v68
	;; [unrolled: 1-line block ×8, first 2 shown]
	v_sub_f32_e32 v86, v66, v71
	v_sub_f32_e32 v87, v67, v42
	v_add_f32_e32 v88, v43, v70
	v_sub_f32_e32 v71, v85, v39
	v_sub_f32_e32 v70, v41, v40
	v_fma_f32 v42, v66, 2.0, -v86
	v_fma_f32 v66, v67, 2.0, -v87
	;; [unrolled: 1-line block ×4, first 2 shown]
	v_sub_f32_e32 v89, v68, v69
	v_fma_f32 v43, v43, 2.0, -v88
	v_add_f32_e32 v79, v83, v79
	v_sub_f32_e32 v39, v42, v39
	v_sub_f32_e32 v40, v66, v40
	v_fma_f32 v69, v68, 2.0, -v89
	v_sub_f32_e32 v72, v84, v72
	v_fma_f32 v68, v83, 2.0, -v79
	v_fma_f32 v41, v42, 2.0, -v39
	;; [unrolled: 1-line block ×3, first 2 shown]
	v_mov_b32_e32 v66, v43
	v_fma_f32 v83, v84, 2.0, -v72
	v_fmac_f32_e32 v66, 0xbf3504f3, v68
	v_mov_b32_e32 v67, v69
	v_fmac_f32_e32 v67, 0xbf3504f3, v83
	v_fmac_f32_e32 v66, 0x3f3504f3, v83
	;; [unrolled: 1-line block ×3, first 2 shown]
	v_fma_f32 v68, v43, 2.0, -v66
	v_mov_b32_e32 v43, 0x50
	v_cndmask_b32_e64 v43, 0, v43, s[2:3]
	v_or_b32_e32 v43, v43, v76
	v_sub_f32_e32 v4, v6, v4
	v_sub_f32_e32 v5, v7, v5
	v_lshlrev_b32_e32 v43, 3, v43
	v_fma_f32 v6, v6, 2.0, -v4
	v_fma_f32 v7, v7, 2.0, -v5
	;; [unrolled: 1-line block ×4, first 2 shown]
	v_add3_u32 v43, 0, v43, v82
	ds_write2_b64 v43, v[6:7], v[10:11] offset1:10
	ds_write2_b64 v43, v[14:15], v[18:19] offset0:20 offset1:30
	ds_write2_b64 v43, v[4:5], v[8:9] offset0:40 offset1:50
	;; [unrolled: 1-line block ×3, first 2 shown]
	v_mul_lo_u16_e32 v4, 0x50, v77
	v_or_b32_e32 v4, v4, v78
	v_lshlrev_b32_sdwa v4, v54, v4 dst_sel:DWORD dst_unused:UNUSED_PAD src0_sel:DWORD src1_sel:BYTE_0
	v_add3_u32 v4, 0, v4, v82
	v_add_f32_e32 v70, v86, v70
	ds_write2_b64 v4, v[22:23], v[26:27] offset1:10
	ds_write2_b64 v4, v[30:31], v[37:38] offset0:20 offset1:30
	ds_write2_b64 v4, v[20:21], v[24:25] offset0:40 offset1:50
	;; [unrolled: 1-line block ×3, first 2 shown]
	v_mul_u32_u24_e32 v4, 0x50, v35
	v_fma_f32 v83, v86, 2.0, -v70
	v_mov_b32_e32 v85, v88
	v_mov_b32_e32 v86, v89
	v_or_b32_sdwa v4, v4, v36 dst_sel:DWORD dst_unused:UNUSED_PAD src0_sel:DWORD src1_sel:BYTE_0
	v_fmac_f32_e32 v85, 0x3f3504f3, v79
	v_fmac_f32_e32 v86, 0x3f3504f3, v72
	v_lshlrev_b32_e32 v4, 3, v4
	v_fma_f32 v69, v69, 2.0, -v67
	v_sub_f32_e32 v71, v87, v71
	v_fmac_f32_e32 v85, 0x3f3504f3, v72
	v_fmac_f32_e32 v86, 0xbf3504f3, v79
	v_add3_u32 v4, 0, v4, v82
	v_fma_f32 v84, v87, 2.0, -v71
	v_fma_f32 v87, v88, 2.0, -v85
	v_fma_f32 v88, v89, 2.0, -v86
	ds_write2_b64 v4, v[41:42], v[68:69] offset1:10
	ds_write2_b64 v4, v[83:84], v[87:88] offset0:20 offset1:30
	ds_write2_b64 v4, v[39:40], v[66:67] offset0:40 offset1:50
	;; [unrolled: 1-line block ×3, first 2 shown]
	s_and_saveexec_b64 s[2:3], s[0:1]
	s_cbranch_execz .LBB0_17
; %bb.16:
	v_mul_lo_u16_sdwa v4, v60, s4 dst_sel:DWORD dst_unused:UNUSED_PAD src0_sel:BYTE_0 src1_sel:DWORD
	v_lshrrev_b16_e32 v18, 11, v4
	v_mul_lo_u16_e32 v4, 10, v18
	v_sub_u16_e32 v19, v60, v4
	v_mul_u32_u24_sdwa v4, v19, v34 dst_sel:DWORD dst_unused:UNUSED_PAD src0_sel:BYTE_0 src1_sel:DWORD
	v_lshlrev_b32_e32 v20, 3, v4
	global_load_dwordx4 v[4:7], v20, s[8:9] offset:16
	global_load_dwordx4 v[8:11], v20, s[8:9]
	global_load_dwordx4 v[12:15], v20, s[8:9] offset:32
	global_load_dwordx2 v[16:17], v20, s[8:9] offset:48
	v_mul_u32_u24_e32 v18, 0x50, v18
	s_waitcnt vmcnt(3)
	v_mul_f32_e32 v20, v50, v7
	s_waitcnt vmcnt(2)
	v_mul_f32_e32 v21, v49, v11
	;; [unrolled: 2-line block ×3, first 2 shown]
	v_mul_f32_e32 v23, v46, v9
	v_mul_f32_e32 v24, v0, v13
	;; [unrolled: 1-line block ×3, first 2 shown]
	s_waitcnt vmcnt(0)
	v_mul_f32_e32 v26, v65, v17
	v_mul_f32_e32 v5, v52, v5
	;; [unrolled: 1-line block ×8, first 2 shown]
	v_fma_f32 v20, v51, v6, -v20
	v_fmac_f32_e32 v21, v48, v10
	v_fmac_f32_e32 v22, v2, v14
	v_fma_f32 v2, v47, v8, -v23
	v_fma_f32 v1, v1, v12, -v24
	v_fmac_f32_e32 v25, v52, v4
	v_fma_f32 v4, v53, v4, -v5
	v_fma_f32 v5, v65, v16, -v17
	;; [unrolled: 3-line block ×3, first 2 shown]
	v_fmac_f32_e32 v7, v50, v6
	v_fmac_f32_e32 v26, v64, v16
	;; [unrolled: 1-line block ×3, first 2 shown]
	v_sub_f32_e32 v6, v45, v20
	v_sub_f32_e32 v8, v21, v22
	;; [unrolled: 1-line block ×9, first 2 shown]
	v_add_f32_e32 v15, v7, v3
	v_fma_f32 v16, v45, 2.0, -v6
	v_fma_f32 v3, v0, 2.0, -v3
	;; [unrolled: 1-line block ×5, first 2 shown]
	v_sub_f32_e32 v13, v10, v1
	v_fma_f32 v9, v9, 2.0, -v11
	v_fma_f32 v17, v25, 2.0, -v1
	v_sub_f32_e32 v22, v16, v3
	v_sub_f32_e32 v23, v21, v2
	v_add_f32_e32 v14, v11, v5
	v_fma_f32 v20, v44, 2.0, -v7
	v_mov_b32_e32 v0, v15
	v_sub_f32_e32 v17, v9, v17
	v_fma_f32 v24, v6, 2.0, -v12
	v_fma_f32 v25, v10, 2.0, -v13
	;; [unrolled: 1-line block ×5, first 2 shown]
	v_mov_b32_e32 v1, v12
	v_sub_f32_e32 v8, v20, v8
	v_fma_f32 v26, v11, 2.0, -v14
	v_fmac_f32_e32 v0, 0x3f3504f3, v14
	v_mov_b32_e32 v5, v24
	v_mov_b32_e32 v4, v27
	v_fma_f32 v11, v9, 2.0, -v17
	v_sub_f32_e32 v9, v16, v10
	v_fmac_f32_e32 v1, 0x3f3504f3, v13
	v_add_f32_e32 v2, v8, v23
	v_fma_f32 v20, v20, 2.0, -v8
	v_fmac_f32_e32 v0, 0x3f3504f3, v13
	v_fmac_f32_e32 v5, 0xbf3504f3, v25
	;; [unrolled: 1-line block ×3, first 2 shown]
	v_fma_f32 v13, v16, 2.0, -v9
	v_or_b32_sdwa v16, v18, v19 dst_sel:DWORD dst_unused:UNUSED_PAD src0_sel:DWORD src1_sel:BYTE_0
	v_fmac_f32_e32 v1, 0xbf3504f3, v14
	v_fma_f32 v6, v8, 2.0, -v2
	v_sub_f32_e32 v8, v20, v11
	v_fmac_f32_e32 v5, 0xbf3504f3, v26
	v_fmac_f32_e32 v4, 0x3f3504f3, v25
	v_lshlrev_b32_e32 v16, 3, v16
	v_sub_f32_e32 v3, v22, v17
	v_fma_f32 v11, v12, 2.0, -v1
	v_fma_f32 v10, v15, 2.0, -v0
	;; [unrolled: 1-line block ×5, first 2 shown]
	v_add3_u32 v16, 0, v16, v82
	v_fma_f32 v7, v22, 2.0, -v3
	ds_write2_b64 v16, v[12:13], v[14:15] offset1:10
	ds_write2_b64 v16, v[6:7], v[10:11] offset0:20 offset1:30
	ds_write2_b64 v16, v[8:9], v[4:5] offset0:40 offset1:50
	;; [unrolled: 1-line block ×3, first 2 shown]
.LBB0_17:
	s_or_b64 exec, exec, s[2:3]
	v_mul_u32_u24_e32 v0, 5, v56
	v_lshlrev_b32_e32 v2, 3, v0
	s_waitcnt lgkmcnt(0)
	; wave barrier
	s_waitcnt lgkmcnt(0)
	global_load_dwordx4 v[6:9], v2, s[8:9] offset:560
	global_load_dwordx4 v[10:13], v2, s[8:9] offset:576
	v_mul_i32_i24_e32 v54, 5, v61
	v_lshlrev_b64 v[0:1], 3, v[54:55]
	v_mov_b32_e32 v64, s9
	v_add_co_u32_e64 v0, s[0:1], s8, v0
	v_addc_co_u32_e64 v1, s[0:1], v64, v1, s[0:1]
	v_mul_i32_i24_e32 v54, 5, v63
	global_load_dwordx4 v[14:17], v[0:1], off offset:560
	global_load_dwordx2 v[102:103], v2, s[8:9] offset:592
	global_load_dwordx4 v[18:21], v[0:1], off offset:576
	v_lshlrev_b64 v[2:3], 3, v[54:55]
	global_load_dwordx2 v[104:105], v[0:1], off offset:592
	v_add_co_u32_e64 v50, s[0:1], s8, v2
	v_addc_co_u32_e64 v51, s[0:1], v64, v3, s[0:1]
	global_load_dwordx4 v[22:25], v[50:51], off offset:560
	v_mul_i32_i24_e32 v54, 5, v60
	v_lshlrev_b64 v[52:53], 3, v[54:55]
	ds_read2_b64 v[0:3], v62 offset0:64 offset1:80
	ds_read2_b64 v[26:29], v62 offset0:160 offset1:176
	;; [unrolled: 1-line block ×3, first 2 shown]
	global_load_dwordx4 v[34:37], v[50:51], off offset:576
	v_add_co_u32_e64 v94, s[0:1], s8, v52
	ds_read2_b64 v[38:41], v62 offset0:96 offset1:112
	ds_read2_b64 v[42:45], v62 offset0:192 offset1:208
	global_load_dwordx2 v[54:55], v[50:51], off offset:592
	v_addc_co_u32_e64 v95, s[0:1], v64, v53, s[0:1]
	global_load_dwordx4 v[50:53], v[94:95], off offset:560
	v_add_u32_e32 v4, 0x800, v62
	v_add3_u32 v5, 0, v75, v82
	ds_read2_b64 v[46:49], v62 offset0:128 offset1:144
	ds_read2_b64 v[64:67], v4 offset0:64 offset1:80
	;; [unrolled: 1-line block ×3, first 2 shown]
	ds_read2_b64 v[75:78], v4 offset1:16
	ds_read2_b64 v[82:85], v4 offset0:160 offset1:176
	ds_read2_b64 v[86:89], v4 offset0:96 offset1:112
	global_load_dwordx2 v[106:107], v[94:95], off offset:592
	global_load_dwordx4 v[90:93], v[94:95], off offset:576
	v_or_b32_e32 v72, 64, v56
	v_mul_u32_u24_e32 v72, 5, v72
	v_lshlrev_b32_e32 v72, 3, v72
	ds_read_b64 v[108:109], v80
	ds_read_b64 v[110:111], v74
	;; [unrolled: 1-line block ×4, first 2 shown]
	global_load_dwordx4 v[94:97], v72, s[8:9] offset:576
	global_load_dwordx4 v[98:101], v72, s[8:9] offset:560
	v_cmp_ne_u32_e64 s[0:1], 0, v56
	s_waitcnt vmcnt(13) lgkmcnt(14)
	v_mul_f32_e32 v79, v3, v7
	v_mul_f32_e32 v7, v2, v7
	s_waitcnt vmcnt(12) lgkmcnt(12)
	v_mul_f32_e32 v117, v33, v11
	v_fmac_f32_e32 v79, v2, v6
	s_waitcnt lgkmcnt(8)
	v_mul_f32_e32 v2, v64, v13
	v_mul_f32_e32 v11, v32, v11
	v_fma_f32 v119, v3, v6, -v7
	v_fmac_f32_e32 v117, v32, v10
	v_fma_f32 v32, v65, v12, -v2
	global_load_dwordx2 v[2:3], v72, s[8:9] offset:592
	v_mul_f32_e32 v116, v27, v9
	v_mul_f32_e32 v9, v26, v9
	v_fmac_f32_e32 v116, v26, v8
	v_fma_f32 v26, v27, v8, -v9
	v_fma_f32 v27, v33, v10, -v11
	s_waitcnt vmcnt(12)
	v_mul_f32_e32 v33, v29, v17
	v_mul_f32_e32 v10, v28, v17
	v_fmac_f32_e32 v33, v28, v16
	v_fma_f32 v16, v29, v16, -v10
	v_mul_f32_e32 v10, v38, v15
	v_mul_f32_e32 v28, v39, v15
	v_fma_f32 v29, v39, v14, -v10
	s_waitcnt vmcnt(8)
	v_mul_f32_e32 v39, v41, v23
	v_mul_f32_e32 v23, v40, v23
	v_fmac_f32_e32 v39, v40, v22
	v_fma_f32 v40, v41, v22, -v23
	v_mul_f32_e32 v41, v43, v25
	v_mul_f32_e32 v22, v42, v25
	ds_read2_b64 v[6:9], v4 offset0:32 offset1:48
	v_fmac_f32_e32 v41, v42, v24
	v_fma_f32 v42, v43, v24, -v22
	s_waitcnt vmcnt(7) lgkmcnt(7)
	v_mul_f32_e32 v43, v78, v35
	v_mul_f32_e32 v22, v77, v35
	v_fmac_f32_e32 v43, v77, v34
	v_fma_f32 v34, v78, v34, -v22
	s_waitcnt lgkmcnt(5)
	v_mul_f32_e32 v35, v87, v37
	v_mul_f32_e32 v22, v86, v37
	;; [unrolled: 1-line block ×3, first 2 shown]
	v_fmac_f32_e32 v35, v86, v36
	v_fma_f32 v36, v87, v36, -v22
	s_waitcnt vmcnt(6)
	v_mul_f32_e32 v37, v85, v55
	v_mul_f32_e32 v22, v84, v55
	v_fmac_f32_e32 v118, v64, v12
	ds_read2_b64 v[10:13], v4 offset0:192 offset1:208
	v_fmac_f32_e32 v37, v84, v54
	v_fma_f32 v54, v85, v54, -v22
	s_waitcnt vmcnt(5)
	v_mul_f32_e32 v55, v47, v51
	v_mul_f32_e32 v22, v46, v51
	v_fmac_f32_e32 v55, v46, v50
	v_fma_f32 v46, v47, v50, -v22
	v_mul_f32_e32 v47, v45, v53
	v_mul_f32_e32 v22, v44, v53
	v_fmac_f32_e32 v47, v44, v52
	v_fma_f32 v44, v45, v52, -v22
	s_waitcnt vmcnt(3) lgkmcnt(1)
	v_mul_f32_e32 v45, v7, v91
	v_fmac_f32_e32 v45, v6, v90
	v_mul_f32_e32 v6, v6, v91
	v_fma_f32 v50, v7, v90, -v6
	v_mul_f32_e32 v6, v88, v93
	v_fma_f32 v52, v89, v92, -v6
	s_waitcnt lgkmcnt(0)
	v_mul_f32_e32 v6, v10, v107
	v_mul_f32_e32 v17, v67, v21
	v_fma_f32 v64, v11, v106, -v6
	s_waitcnt vmcnt(1)
	v_mul_f32_e32 v6, v48, v99
	v_fmac_f32_e32 v28, v38, v14
	v_mul_f32_e32 v14, v71, v103
	v_fmac_f32_e32 v17, v66, v20
	v_mul_f32_e32 v21, v66, v21
	v_fma_f32 v66, v49, v98, -v6
	v_mul_f32_e32 v6, v30, v101
	v_fmac_f32_e32 v14, v70, v102
	v_mul_f32_e32 v15, v70, v103
	v_fma_f32 v20, v67, v20, -v21
	v_mul_f32_e32 v21, v76, v19
	v_fma_f32 v70, v31, v100, -v6
	v_mul_f32_e32 v6, v8, v95
	v_fmac_f32_e32 v21, v75, v18
	v_mul_f32_e32 v19, v75, v19
	v_fma_f32 v72, v9, v94, -v6
	v_mul_f32_e32 v75, v69, v97
	v_mul_f32_e32 v6, v68, v97
	v_fmac_f32_e32 v75, v68, v96
	v_fma_f32 v68, v69, v96, -v6
	v_fma_f32 v18, v76, v18, -v19
	v_mul_f32_e32 v53, v11, v107
	v_fmac_f32_e32 v53, v10, v106
	v_fma_f32 v15, v71, v102, -v15
	v_mul_f32_e32 v71, v9, v95
	v_fmac_f32_e32 v71, v8, v94
	s_waitcnt vmcnt(0)
	v_mul_f32_e32 v69, v13, v3
	v_mul_f32_e32 v3, v12, v3
	v_fmac_f32_e32 v69, v12, v2
	v_fma_f32 v76, v13, v2, -v3
	v_add_f32_e32 v2, v108, v116
	v_add_f32_e32 v10, v2, v118
	;; [unrolled: 1-line block ×3, first 2 shown]
	v_fma_f32 v11, -0.5, v2, v108
	v_sub_f32_e32 v2, v26, v32
	v_mov_b32_e32 v12, v11
	v_fmac_f32_e32 v12, 0xbf5db3d7, v2
	v_fmac_f32_e32 v11, 0x3f5db3d7, v2
	v_add_f32_e32 v2, v109, v26
	v_add_f32_e32 v13, v2, v32
	v_add_f32_e32 v2, v26, v32
	v_fmac_f32_e32 v109, -0.5, v2
	v_sub_f32_e32 v2, v116, v118
	v_mov_b32_e32 v22, v109
	v_fmac_f32_e32 v22, 0x3f5db3d7, v2
	v_fmac_f32_e32 v109, 0xbf5db3d7, v2
	v_add_f32_e32 v2, v79, v117
	v_add_f32_e32 v23, v2, v14
	v_add_f32_e32 v2, v117, v14
	v_fmac_f32_e32 v79, -0.5, v2
	;; [unrolled: 8-line block ×3, first 2 shown]
	v_sub_f32_e32 v2, v117, v14
	v_mov_b32_e32 v9, v119
	v_fmac_f32_e32 v9, 0x3f5db3d7, v2
	v_fmac_f32_e32 v119, 0xbf5db3d7, v2
	v_add_f32_e32 v2, v10, v23
	v_mul_f32_e32 v14, 0xbf5db3d7, v9
	v_mul_f32_e32 v15, 0xbf5db3d7, v119
	v_mul_f32_e32 v25, 0.5, v9
	v_sub_f32_e32 v10, v10, v23
	v_add_f32_e32 v23, v33, v17
	v_fmac_f32_e32 v14, 0.5, v7
	v_fmac_f32_e32 v15, -0.5, v79
	v_fmac_f32_e32 v25, 0x3f5db3d7, v7
	v_fma_f32 v23, -0.5, v23, v110
	v_add_f32_e32 v6, v12, v14
	v_add_f32_e32 v8, v11, v15
	;; [unrolled: 1-line block ×4, first 2 shown]
	v_sub_f32_e32 v12, v12, v14
	v_sub_f32_e32 v14, v11, v15
	;; [unrolled: 1-line block ×5, first 2 shown]
	v_mov_b32_e32 v25, v23
	v_fmac_f32_e32 v25, 0xbf5db3d7, v24
	v_fmac_f32_e32 v23, 0x3f5db3d7, v24
	v_add_f32_e32 v24, v111, v16
	v_add_f32_e32 v16, v16, v20
	v_mul_f32_e32 v67, v31, v101
	v_fmac_f32_e32 v111, -0.5, v16
	v_mul_f32_e32 v19, v83, v105
	v_fmac_f32_e32 v67, v30, v100
	v_sub_f32_e32 v16, v33, v17
	v_mov_b32_e32 v30, v111
	v_fmac_f32_e32 v19, v82, v104
	v_fmac_f32_e32 v30, 0x3f5db3d7, v16
	;; [unrolled: 1-line block ×3, first 2 shown]
	v_add_f32_e32 v16, v28, v21
	v_mul_f32_e32 v38, v82, v105
	v_mul_f32_e32 v26, -0.5, v119
	v_add_f32_e32 v27, v24, v20
	v_add_f32_e32 v24, v16, v19
	;; [unrolled: 1-line block ×3, first 2 shown]
	v_fma_f32 v38, v83, v104, -v38
	v_fmac_f32_e32 v26, 0x3f5db3d7, v79
	v_fmac_f32_e32 v28, -0.5, v16
	v_add_f32_e32 v9, v109, v26
	v_sub_f32_e32 v15, v109, v26
	v_sub_f32_e32 v16, v18, v38
	v_mov_b32_e32 v26, v28
	v_fmac_f32_e32 v26, 0xbf5db3d7, v16
	v_fmac_f32_e32 v28, 0x3f5db3d7, v16
	v_add_f32_e32 v16, v29, v18
	v_add_f32_e32 v31, v16, v38
	;; [unrolled: 1-line block ×3, first 2 shown]
	v_fmac_f32_e32 v29, -0.5, v16
	v_sub_f32_e32 v16, v21, v19
	v_mov_b32_e32 v19, v29
	v_fmac_f32_e32 v19, 0x3f5db3d7, v16
	v_fmac_f32_e32 v29, 0xbf5db3d7, v16
	v_add_f32_e32 v22, v110, v33
	v_mul_f32_e32 v32, 0xbf5db3d7, v19
	v_mul_f32_e32 v33, 0xbf5db3d7, v29
	v_mul_f32_e32 v38, 0.5, v19
	v_mul_f32_e32 v29, -0.5, v29
	v_add_f32_e32 v22, v22, v17
	v_fmac_f32_e32 v32, 0.5, v26
	v_fmac_f32_e32 v33, -0.5, v28
	v_fmac_f32_e32 v38, 0x3f5db3d7, v26
	v_fmac_f32_e32 v29, 0x3f5db3d7, v28
	v_add_f32_e32 v28, v112, v41
	v_mul_f32_e32 v65, v49, v99
	v_add_f32_e32 v16, v22, v24
	v_add_f32_e32 v18, v25, v32
	;; [unrolled: 1-line block ×3, first 2 shown]
	v_sub_f32_e32 v22, v22, v24
	v_sub_f32_e32 v24, v25, v32
	v_sub_f32_e32 v25, v30, v38
	v_add_f32_e32 v38, v28, v35
	v_add_f32_e32 v28, v41, v35
	v_fmac_f32_e32 v65, v48, v98
	v_fma_f32 v48, -0.5, v28, v112
	v_sub_f32_e32 v28, v42, v36
	v_mov_b32_e32 v49, v48
	v_fmac_f32_e32 v49, 0xbf5db3d7, v28
	v_fmac_f32_e32 v48, 0x3f5db3d7, v28
	v_add_f32_e32 v28, v113, v42
	v_add_f32_e32 v77, v28, v36
	;; [unrolled: 1-line block ×3, first 2 shown]
	v_fmac_f32_e32 v113, -0.5, v28
	v_sub_f32_e32 v28, v41, v35
	v_mov_b32_e32 v41, v113
	v_fmac_f32_e32 v41, 0x3f5db3d7, v28
	v_fmac_f32_e32 v113, 0xbf5db3d7, v28
	v_add_f32_e32 v28, v39, v43
	v_add_f32_e32 v35, v28, v37
	;; [unrolled: 1-line block ×3, first 2 shown]
	v_fmac_f32_e32 v39, -0.5, v28
	v_add_f32_e32 v20, v23, v33
	v_add_f32_e32 v17, v27, v31
	v_sub_f32_e32 v26, v23, v33
	v_sub_f32_e32 v23, v27, v31
	;; [unrolled: 1-line block ×3, first 2 shown]
	v_mov_b32_e32 v31, v39
	v_fmac_f32_e32 v31, 0xbf5db3d7, v28
	v_fmac_f32_e32 v39, 0x3f5db3d7, v28
	v_add_f32_e32 v28, v40, v34
	v_add_f32_e32 v42, v28, v54
	;; [unrolled: 1-line block ×3, first 2 shown]
	v_fmac_f32_e32 v40, -0.5, v28
	v_sub_f32_e32 v28, v43, v37
	v_mov_b32_e32 v33, v40
	v_fmac_f32_e32 v40, 0xbf5db3d7, v28
	v_mul_f32_e32 v37, 0xbf5db3d7, v40
	v_mul_f32_e32 v40, -0.5, v40
	v_mul_f32_e32 v51, v89, v93
	v_fmac_f32_e32 v33, 0x3f5db3d7, v28
	v_fmac_f32_e32 v40, 0x3f5db3d7, v39
	;; [unrolled: 1-line block ×3, first 2 shown]
	v_mul_f32_e32 v36, 0xbf5db3d7, v33
	v_fmac_f32_e32 v37, -0.5, v39
	v_mul_f32_e32 v43, 0.5, v33
	v_add_f32_e32 v33, v113, v40
	v_sub_f32_e32 v39, v113, v40
	v_add_f32_e32 v40, v114, v47
	v_add_f32_e32 v28, v38, v35
	v_fmac_f32_e32 v36, 0.5, v31
	v_add_f32_e32 v32, v48, v37
	v_sub_f32_e32 v34, v38, v35
	v_sub_f32_e32 v38, v48, v37
	v_add_f32_e32 v48, v40, v51
	v_add_f32_e32 v40, v47, v51
	;; [unrolled: 1-line block ×3, first 2 shown]
	v_sub_f32_e32 v36, v49, v36
	v_fma_f32 v49, -0.5, v40, v114
	v_sub_f32_e32 v40, v44, v52
	v_mov_b32_e32 v54, v49
	v_fmac_f32_e32 v54, 0xbf5db3d7, v40
	v_fmac_f32_e32 v49, 0x3f5db3d7, v40
	v_add_f32_e32 v40, v115, v44
	v_add_f32_e32 v21, v111, v29
	v_sub_f32_e32 v27, v111, v29
	v_add_f32_e32 v29, v77, v42
	v_sub_f32_e32 v35, v77, v42
	v_add_f32_e32 v77, v40, v52
	v_add_f32_e32 v40, v44, v52
	v_fmac_f32_e32 v115, -0.5, v40
	v_sub_f32_e32 v40, v47, v51
	v_mov_b32_e32 v51, v115
	v_fmac_f32_e32 v51, 0x3f5db3d7, v40
	v_fmac_f32_e32 v115, 0xbf5db3d7, v40
	v_add_f32_e32 v40, v55, v45
	v_add_f32_e32 v47, v40, v53
	;; [unrolled: 1-line block ×3, first 2 shown]
	v_fmac_f32_e32 v43, 0x3f5db3d7, v31
	v_fmac_f32_e32 v55, -0.5, v40
	v_add_f32_e32 v31, v41, v43
	v_sub_f32_e32 v37, v41, v43
	v_sub_f32_e32 v40, v50, v64
	v_mov_b32_e32 v43, v55
	v_fmac_f32_e32 v43, 0xbf5db3d7, v40
	v_fmac_f32_e32 v55, 0x3f5db3d7, v40
	v_add_f32_e32 v40, v46, v50
	v_add_f32_e32 v52, v40, v64
	;; [unrolled: 1-line block ×3, first 2 shown]
	v_fmac_f32_e32 v46, -0.5, v40
	v_sub_f32_e32 v40, v45, v53
	v_mov_b32_e32 v45, v46
	v_fmac_f32_e32 v46, 0xbf5db3d7, v40
	v_fmac_f32_e32 v45, 0x3f5db3d7, v40
	v_add_f32_e32 v40, v48, v47
	v_mul_f32_e32 v53, 0xbf5db3d7, v46
	v_add_f32_e32 v41, v77, v52
	v_mul_f32_e32 v78, -0.5, v46
	v_sub_f32_e32 v46, v48, v47
	v_sub_f32_e32 v47, v77, v52
	v_add_f32_e32 v52, v0, v67
	v_mul_f32_e32 v50, 0xbf5db3d7, v45
	v_mul_f32_e32 v64, 0.5, v45
	v_add_f32_e32 v77, v52, v75
	v_add_f32_e32 v52, v67, v75
	v_fmac_f32_e32 v50, 0.5, v43
	v_fmac_f32_e32 v53, -0.5, v55
	v_fmac_f32_e32 v64, 0x3f5db3d7, v43
	v_fmac_f32_e32 v78, 0x3f5db3d7, v55
	v_fma_f32 v0, -0.5, v52, v0
	v_add_f32_e32 v42, v54, v50
	v_add_f32_e32 v44, v49, v53
	;; [unrolled: 1-line block ×4, first 2 shown]
	v_sub_f32_e32 v48, v54, v50
	v_sub_f32_e32 v50, v49, v53
	v_sub_f32_e32 v49, v51, v64
	v_sub_f32_e32 v51, v115, v78
	v_sub_f32_e32 v52, v70, v68
	v_mov_b32_e32 v78, v0
	v_fmac_f32_e32 v78, 0xbf5db3d7, v52
	v_fmac_f32_e32 v0, 0x3f5db3d7, v52
	v_add_f32_e32 v52, v1, v70
	v_add_f32_e32 v79, v52, v68
	v_add_f32_e32 v52, v70, v68
	v_fmac_f32_e32 v1, -0.5, v52
	v_sub_f32_e32 v52, v67, v75
	v_mov_b32_e32 v70, v1
	v_fmac_f32_e32 v70, 0x3f5db3d7, v52
	v_fmac_f32_e32 v1, 0xbf5db3d7, v52
	v_add_f32_e32 v52, v65, v71
	v_add_f32_e32 v67, v52, v69
	v_add_f32_e32 v52, v71, v69
	v_fmac_f32_e32 v65, -0.5, v52
	v_sub_f32_e32 v52, v72, v76
	;; [unrolled: 8-line block ×3, first 2 shown]
	v_mov_b32_e32 v68, v66
	s_waitcnt lgkmcnt(0)
	; wave barrier
	ds_write_b64 v62, v[2:3]
	ds_write2_b64 v62, v[6:7], v[8:9] offset0:80 offset1:160
	v_add_u32_e32 v2, 0x400, v62
	v_fmac_f32_e32 v68, 0x3f5db3d7, v52
	v_fmac_f32_e32 v66, 0xbf5db3d7, v52
	ds_write2_b64 v2, v[10:11], v[12:13] offset0:112 offset1:192
	ds_write_b64 v62, v[14:15] offset:3200
	ds_write2_b64 v74, v[16:17], v[18:19] offset1:80
	ds_write2_b64 v74, v[20:21], v[22:23] offset0:160 offset1:240
	v_add_u32_e32 v2, 0x800, v74
	v_mul_f32_e32 v69, 0xbf5db3d7, v68
	v_mul_f32_e32 v71, 0xbf5db3d7, v66
	v_mul_f32_e32 v72, 0.5, v68
	v_mul_f32_e32 v76, -0.5, v66
	ds_write2_b64 v2, v[24:25], v[26:27] offset0:64 offset1:144
	ds_write2_b64 v73, v[28:29], v[30:31] offset1:80
	ds_write2_b64 v73, v[32:33], v[34:35] offset0:160 offset1:240
	v_add_u32_e32 v2, 0x800, v73
	v_fmac_f32_e32 v69, 0.5, v55
	v_fmac_f32_e32 v71, -0.5, v65
	v_fmac_f32_e32 v72, 0x3f5db3d7, v55
	v_fmac_f32_e32 v76, 0x3f5db3d7, v65
	ds_write2_b64 v2, v[36:37], v[38:39] offset0:64 offset1:144
	ds_write2_b64 v5, v[40:41], v[42:43] offset1:80
	ds_write2_b64 v5, v[44:45], v[46:47] offset0:160 offset1:240
	v_add_u32_e32 v2, 0x800, v5
	v_add_f32_e32 v52, v77, v67
	v_add_f32_e32 v54, v78, v69
	;; [unrolled: 1-line block ×6, first 2 shown]
	v_sub_f32_e32 v66, v77, v67
	v_sub_f32_e32 v68, v78, v69
	;; [unrolled: 1-line block ×6, first 2 shown]
	ds_write2_b64 v2, v[48:49], v[50:51] offset0:64 offset1:144
	ds_write_b64 v62, v[52:53] offset:512
	ds_write2_b64 v62, v[54:55], v[64:65] offset0:144 offset1:224
	ds_write2_b64 v4, v[66:67], v[68:69] offset0:48 offset1:128
	ds_write_b64 v62, v[0:1] offset:3712
	s_waitcnt lgkmcnt(0)
	; wave barrier
	s_waitcnt lgkmcnt(0)
	ds_read_b64 v[4:5], v80
	v_sub_u32_e32 v6, v81, v57
                                        ; implicit-def: $vgpr3
                                        ; implicit-def: $vgpr7
                                        ; implicit-def: $vgpr0_vgpr1
	s_and_saveexec_b64 s[2:3], s[0:1]
	s_xor_b64 s[0:1], exec, s[2:3]
	s_cbranch_execz .LBB0_19
; %bb.18:
	global_load_dwordx2 v[0:1], v57, s[8:9] offset:3760
	ds_read_b64 v[2:3], v6 offset:3840
	v_mov_b32_e32 v57, 0
	s_waitcnt lgkmcnt(0)
	v_add_f32_e32 v8, v2, v4
	v_sub_f32_e32 v2, v4, v2
	v_add_f32_e32 v7, v3, v5
	v_sub_f32_e32 v3, v5, v3
	v_mul_f32_e32 v2, 0.5, v2
	v_mul_f32_e32 v4, 0.5, v7
	;; [unrolled: 1-line block ×3, first 2 shown]
	s_waitcnt vmcnt(0)
	v_mul_f32_e32 v5, v1, v2
	v_fma_f32 v7, v4, v1, v3
	v_fma_f32 v1, v4, v1, -v3
	v_fma_f32 v9, 0.5, v8, v5
	v_fma_f32 v5, v8, 0.5, -v5
	v_fma_f32 v7, -v0, v2, v7
	v_fma_f32 v3, -v0, v2, v1
	v_fmac_f32_e32 v9, v0, v4
	v_fma_f32 v2, -v0, v4, v5
	v_mov_b32_e32 v0, v56
	ds_write_b32 v80, v9
	v_mov_b32_e32 v1, v57
                                        ; implicit-def: $vgpr4_vgpr5
.LBB0_19:
	s_andn2_saveexec_b64 s[0:1], s[0:1]
	s_cbranch_execz .LBB0_21
; %bb.20:
	ds_read_b32 v3, v81 offset:1924
	s_waitcnt lgkmcnt(1)
	v_add_f32_e32 v7, v4, v5
	v_mov_b32_e32 v0, 0
	ds_write_b32 v80, v7
	v_mov_b32_e32 v7, 0
	s_waitcnt lgkmcnt(1)
	v_xor_b32_e32 v3, 0x80000000, v3
	v_sub_f32_e32 v2, v4, v5
	v_mov_b32_e32 v1, 0
	ds_write_b32 v81, v3 offset:1924
	v_mov_b32_e32 v3, v7
.LBB0_21:
	s_or_b64 exec, exec, s[0:1]
	v_mov_b32_e32 v62, 0
	s_waitcnt lgkmcnt(0)
	v_lshlrev_b64 v[4:5], 3, v[61:62]
	v_mov_b32_e32 v8, s9
	v_add_co_u32_e64 v4, s[0:1], s8, v4
	v_addc_co_u32_e64 v5, s[0:1], v8, v5, s[0:1]
	global_load_dwordx2 v[4:5], v[4:5], off offset:3760
	v_mov_b32_e32 v64, v62
	v_lshlrev_b64 v[8:9], 3, v[63:64]
	v_mov_b32_e32 v10, s9
	v_add_co_u32_e64 v8, s[0:1], s8, v8
	v_addc_co_u32_e64 v9, s[0:1], v10, v9, s[0:1]
	global_load_dwordx2 v[8:9], v[8:9], off offset:3760
	v_mov_b32_e32 v61, v62
	v_lshlrev_b64 v[10:11], 3, v[60:61]
	v_mov_b32_e32 v12, s9
	v_add_co_u32_e64 v10, s[0:1], s8, v10
	v_addc_co_u32_e64 v11, s[0:1], v12, v11, s[0:1]
	global_load_dwordx2 v[10:11], v[10:11], off offset:3760
	s_add_u32 s0, s8, 0xeb0
	v_lshlrev_b64 v[0:1], 3, v[0:1]
	s_addc_u32 s1, s9, 0
	ds_write_b32 v80, v7 offset:4
	ds_write_b64 v6, v[2:3] offset:3840
	v_mov_b32_e32 v7, s1
	v_add_co_u32_e64 v14, s[0:1], s0, v0
	v_addc_co_u32_e64 v15, s[0:1], v7, v1, s[0:1]
	ds_read_b64 v[2:3], v74
	ds_read_b64 v[12:13], v6 offset:3712
	global_load_dwordx2 v[16:17], v[14:15], off offset:512
	s_waitcnt lgkmcnt(0)
	v_add_f32_e32 v7, v2, v12
	v_sub_f32_e32 v2, v2, v12
	v_add_f32_e32 v18, v3, v13
	v_sub_f32_e32 v3, v3, v13
	v_mul_f32_e32 v13, 0.5, v2
	v_mul_f32_e32 v12, 0.5, v18
	;; [unrolled: 1-line block ×3, first 2 shown]
	s_waitcnt vmcnt(3)
	v_mul_f32_e32 v18, v5, v13
	v_fma_f32 v3, v12, v5, v2
	v_fma_f32 v5, v12, v5, -v2
	v_fma_f32 v2, 0.5, v7, v18
	v_fma_f32 v3, -v4, v13, v3
	v_fma_f32 v7, v7, 0.5, -v18
	v_fmac_f32_e32 v2, v4, v12
	v_fma_f32 v5, -v4, v13, v5
	v_fma_f32 v4, -v4, v12, v7
	ds_write_b64 v74, v[2:3]
	ds_write_b64 v6, v[4:5] offset:3712
	ds_read_b64 v[2:3], v73
	ds_read_b64 v[4:5], v6 offset:3584
	global_load_dwordx2 v[12:13], v[14:15], off offset:640
	v_lshl_add_u32 v18, v60, 3, v81
	s_waitcnt lgkmcnt(0)
	v_add_f32_e32 v7, v2, v4
	v_sub_f32_e32 v2, v2, v4
	v_add_f32_e32 v19, v3, v5
	v_sub_f32_e32 v3, v3, v5
	v_mul_f32_e32 v5, 0.5, v2
	v_mul_f32_e32 v4, 0.5, v19
	;; [unrolled: 1-line block ×3, first 2 shown]
	s_waitcnt vmcnt(3)
	v_mul_f32_e32 v19, v9, v5
	v_fma_f32 v3, v4, v9, v2
	v_fma_f32 v9, v4, v9, -v2
	v_fma_f32 v2, 0.5, v7, v19
	v_fma_f32 v3, -v8, v5, v3
	v_fma_f32 v7, v7, 0.5, -v19
	v_fmac_f32_e32 v2, v8, v4
	v_fma_f32 v5, -v8, v5, v9
	v_fma_f32 v4, -v8, v4, v7
	ds_write_b64 v73, v[2:3]
	ds_write_b64 v6, v[4:5] offset:3584
	ds_read_b64 v[2:3], v18
	ds_read_b64 v[4:5], v6 offset:3456
	global_load_dwordx2 v[7:8], v[14:15], off offset:768
	s_waitcnt lgkmcnt(0)
	v_add_f32_e32 v9, v2, v4
	v_sub_f32_e32 v2, v2, v4
	v_add_f32_e32 v19, v3, v5
	v_sub_f32_e32 v3, v3, v5
	v_mul_f32_e32 v5, 0.5, v2
	v_mul_f32_e32 v4, 0.5, v19
	;; [unrolled: 1-line block ×3, first 2 shown]
	s_waitcnt vmcnt(3)
	v_mul_f32_e32 v19, v11, v5
	v_fma_f32 v3, v4, v11, v2
	v_fma_f32 v11, v4, v11, -v2
	v_fma_f32 v2, 0.5, v9, v19
	v_fma_f32 v3, -v10, v5, v3
	v_fma_f32 v9, v9, 0.5, -v19
	v_fmac_f32_e32 v2, v10, v4
	v_fma_f32 v5, -v10, v5, v11
	v_fma_f32 v4, -v10, v4, v9
	ds_write_b64 v18, v[2:3]
	ds_write_b64 v6, v[4:5] offset:3456
	ds_read_b64 v[2:3], v80 offset:512
	ds_read_b64 v[4:5], v6 offset:3328
	global_load_dwordx2 v[9:10], v[14:15], off offset:896
	s_waitcnt lgkmcnt(0)
	v_add_f32_e32 v11, v2, v4
	v_sub_f32_e32 v2, v2, v4
	v_add_f32_e32 v18, v3, v5
	v_sub_f32_e32 v3, v3, v5
	v_mul_f32_e32 v5, 0.5, v2
	v_mul_f32_e32 v4, 0.5, v18
	;; [unrolled: 1-line block ×3, first 2 shown]
	s_waitcnt vmcnt(3)
	v_mul_f32_e32 v18, v17, v5
	v_fma_f32 v3, v4, v17, v2
	v_fma_f32 v17, v4, v17, -v2
	v_fma_f32 v2, 0.5, v11, v18
	v_fma_f32 v3, -v16, v5, v3
	v_fma_f32 v11, v11, 0.5, -v18
	v_fmac_f32_e32 v2, v16, v4
	v_fma_f32 v5, -v16, v5, v17
	v_fma_f32 v4, -v16, v4, v11
	ds_write_b64 v80, v[2:3] offset:512
	ds_write_b64 v6, v[4:5] offset:3328
	ds_read_b64 v[2:3], v80 offset:640
	ds_read_b64 v[4:5], v6 offset:3200
	global_load_dwordx2 v[16:17], v[14:15], off offset:1024
	s_waitcnt lgkmcnt(0)
	v_add_f32_e32 v11, v2, v4
	v_sub_f32_e32 v2, v2, v4
	v_add_f32_e32 v18, v3, v5
	v_sub_f32_e32 v3, v3, v5
	v_mul_f32_e32 v5, 0.5, v2
	v_mul_f32_e32 v4, 0.5, v18
	v_mul_f32_e32 v18, 0.5, v3
	s_waitcnt vmcnt(3)
	v_mul_f32_e32 v19, v13, v5
	v_fma_f32 v2, 0.5, v11, v19
	v_fma_f32 v3, v4, v13, v18
	v_fmac_f32_e32 v2, v12, v4
	v_fma_f32 v3, -v12, v5, v3
	ds_write_b64 v80, v[2:3] offset:640
	v_fma_f32 v2, v11, 0.5, -v19
	v_fma_f32 v3, v4, v13, -v18
	v_fma_f32 v2, -v12, v4, v2
	v_fma_f32 v3, -v12, v5, v3
	ds_write_b64 v6, v[2:3] offset:3200
	ds_read_b64 v[2:3], v80 offset:768
	ds_read_b64 v[4:5], v6 offset:3072
	global_load_dwordx2 v[11:12], v[14:15], off offset:1152
	s_waitcnt lgkmcnt(0)
	v_add_f32_e32 v13, v2, v4
	v_sub_f32_e32 v2, v2, v4
	v_add_f32_e32 v18, v3, v5
	v_sub_f32_e32 v3, v3, v5
	v_mul_f32_e32 v4, 0.5, v2
	v_mul_f32_e32 v18, 0.5, v18
	v_mul_f32_e32 v5, 0.5, v3
	s_waitcnt vmcnt(3)
	v_mul_f32_e32 v19, v8, v4
	v_fma_f32 v2, 0.5, v13, v19
	v_fma_f32 v3, v18, v8, v5
	v_fmac_f32_e32 v2, v7, v18
	v_fma_f32 v3, -v7, v4, v3
	ds_write_b64 v80, v[2:3] offset:768
	v_fma_f32 v2, v13, 0.5, -v19
	v_fma_f32 v3, v18, v8, -v5
	v_fma_f32 v2, -v7, v18, v2
	v_fma_f32 v3, -v7, v4, v3
	;; [unrolled: 23-line block ×7, first 2 shown]
	ds_write_b64 v6, v[2:3] offset:2432
	ds_read_b64 v[2:3], v80 offset:1536
	ds_read_b64 v[4:5], v6 offset:2304
	s_waitcnt lgkmcnt(0)
	v_add_f32_e32 v9, v2, v4
	v_sub_f32_e32 v2, v2, v4
	v_add_f32_e32 v10, v3, v5
	v_sub_f32_e32 v3, v3, v5
	v_mul_f32_e32 v4, 0.5, v2
	v_mul_f32_e32 v10, 0.5, v10
	v_mul_f32_e32 v5, 0.5, v3
	s_waitcnt vmcnt(2)
	v_mul_f32_e32 v13, v17, v4
	v_fma_f32 v2, 0.5, v9, v13
	v_fma_f32 v3, v10, v17, v5
	v_fmac_f32_e32 v2, v16, v10
	v_fma_f32 v3, -v16, v4, v3
	ds_write_b64 v80, v[2:3] offset:1536
	v_fma_f32 v2, v9, 0.5, -v13
	v_fma_f32 v3, v10, v17, -v5
	v_fma_f32 v2, -v16, v10, v2
	v_fma_f32 v3, -v16, v4, v3
	ds_write_b64 v6, v[2:3] offset:2304
	ds_read_b64 v[2:3], v80 offset:1664
	ds_read_b64 v[4:5], v6 offset:2176
	s_waitcnt lgkmcnt(0)
	v_add_f32_e32 v9, v2, v4
	v_sub_f32_e32 v2, v2, v4
	v_add_f32_e32 v10, v3, v5
	v_sub_f32_e32 v3, v3, v5
	v_mul_f32_e32 v4, 0.5, v2
	v_mul_f32_e32 v10, 0.5, v10
	v_mul_f32_e32 v5, 0.5, v3
	s_waitcnt vmcnt(1)
	v_mul_f32_e32 v13, v12, v4
	v_fma_f32 v2, 0.5, v9, v13
	v_fma_f32 v3, v10, v12, v5
	v_fmac_f32_e32 v2, v11, v10
	v_fma_f32 v3, -v11, v4, v3
	ds_write_b64 v80, v[2:3] offset:1664
	v_fma_f32 v2, v9, 0.5, -v13
	v_fma_f32 v3, v10, v12, -v5
	v_fma_f32 v2, -v11, v10, v2
	v_fma_f32 v3, -v11, v4, v3
	;; [unrolled: 22-line block ×3, first 2 shown]
	ds_write_b64 v6, v[2:3] offset:2048
	s_waitcnt lgkmcnt(0)
	; wave barrier
	s_waitcnt lgkmcnt(0)
	s_and_saveexec_b64 s[0:1], vcc
	s_cbranch_execz .LBB0_24
; %bb.22:
	ds_read2_b64 v[4:7], v80 offset1:16
	v_mov_b32_e32 v3, s13
	v_add_co_u32_e32 v2, vcc, s12, v58
	ds_read2_b64 v[8:11], v80 offset0:32 offset1:48
	v_addc_co_u32_e32 v3, vcc, v3, v59, vcc
	v_add_co_u32_e32 v0, vcc, v2, v0
	v_addc_co_u32_e32 v1, vcc, v3, v1, vcc
	s_waitcnt lgkmcnt(1)
	global_store_dwordx2 v[0:1], v[4:5], off
	ds_read2_b64 v[12:15], v80 offset0:64 offset1:80
	global_store_dwordx2 v[0:1], v[6:7], off offset:128
	s_waitcnt lgkmcnt(1)
	global_store_dwordx2 v[0:1], v[8:9], off offset:256
	ds_read2_b64 v[4:7], v80 offset0:96 offset1:112
	global_store_dwordx2 v[0:1], v[10:11], off offset:384
	s_waitcnt lgkmcnt(1)
	global_store_dwordx2 v[0:1], v[12:13], off offset:512
	;; [unrolled: 4-line block ×5, first 2 shown]
	global_store_dwordx2 v[0:1], v[14:15], off offset:1408
	ds_read2_b64 v[8:11], v80 offset0:224 offset1:240
	v_add_u32_e32 v16, 0x800, v80
	ds_read2_b64 v[12:15], v16 offset1:16
	s_waitcnt lgkmcnt(2)
	global_store_dwordx2 v[0:1], v[4:5], off offset:1536
	global_store_dwordx2 v[0:1], v[6:7], off offset:1664
	s_waitcnt lgkmcnt(1)
	global_store_dwordx2 v[0:1], v[8:9], off offset:1792
	ds_read2_b64 v[4:7], v16 offset0:32 offset1:48
	global_store_dwordx2 v[0:1], v[10:11], off offset:1920
	s_waitcnt lgkmcnt(1)
	global_store_dwordx2 v[0:1], v[12:13], off offset:2048
	ds_read2_b64 v[8:11], v16 offset0:64 offset1:80
	;; [unrolled: 4-line block ×3, first 2 shown]
	global_store_dwordx2 v[0:1], v[6:7], off offset:2432
	s_waitcnt lgkmcnt(1)
	global_store_dwordx2 v[0:1], v[8:9], off offset:2560
	global_store_dwordx2 v[0:1], v[10:11], off offset:2688
	ds_read2_b64 v[4:7], v16 offset0:128 offset1:144
	ds_read2_b64 v[8:11], v16 offset0:160 offset1:176
	v_cmp_eq_u32_e32 vcc, 15, v56
	s_waitcnt lgkmcnt(2)
	global_store_dwordx2 v[0:1], v[12:13], off offset:2816
	global_store_dwordx2 v[0:1], v[14:15], off offset:2944
	ds_read2_b64 v[12:15], v16 offset0:192 offset1:208
	s_waitcnt lgkmcnt(2)
	global_store_dwordx2 v[0:1], v[4:5], off offset:3072
	global_store_dwordx2 v[0:1], v[6:7], off offset:3200
	s_waitcnt lgkmcnt(1)
	global_store_dwordx2 v[0:1], v[8:9], off offset:3328
	global_store_dwordx2 v[0:1], v[10:11], off offset:3456
	;; [unrolled: 3-line block ×3, first 2 shown]
	s_and_b64 exec, exec, vcc
	s_cbranch_execz .LBB0_24
; %bb.23:
	ds_read_b64 v[0:1], v80 offset:3720
	s_waitcnt lgkmcnt(0)
	global_store_dwordx2 v[2:3], v[0:1], off offset:3840
.LBB0_24:
	s_endpgm
	.section	.rodata,"a",@progbits
	.p2align	6, 0x0
	.amdhsa_kernel fft_rtc_back_len480_factors_10_8_6_wgs_64_tpt_16_halfLds_sp_ip_CI_unitstride_sbrr_R2C_dirReg
		.amdhsa_group_segment_fixed_size 0
		.amdhsa_private_segment_fixed_size 0
		.amdhsa_kernarg_size 88
		.amdhsa_user_sgpr_count 6
		.amdhsa_user_sgpr_private_segment_buffer 1
		.amdhsa_user_sgpr_dispatch_ptr 0
		.amdhsa_user_sgpr_queue_ptr 0
		.amdhsa_user_sgpr_kernarg_segment_ptr 1
		.amdhsa_user_sgpr_dispatch_id 0
		.amdhsa_user_sgpr_flat_scratch_init 0
		.amdhsa_user_sgpr_private_segment_size 0
		.amdhsa_uses_dynamic_stack 0
		.amdhsa_system_sgpr_private_segment_wavefront_offset 0
		.amdhsa_system_sgpr_workgroup_id_x 1
		.amdhsa_system_sgpr_workgroup_id_y 0
		.amdhsa_system_sgpr_workgroup_id_z 0
		.amdhsa_system_sgpr_workgroup_info 0
		.amdhsa_system_vgpr_workitem_id 0
		.amdhsa_next_free_vgpr 120
		.amdhsa_next_free_sgpr 22
		.amdhsa_reserve_vcc 1
		.amdhsa_reserve_flat_scratch 0
		.amdhsa_float_round_mode_32 0
		.amdhsa_float_round_mode_16_64 0
		.amdhsa_float_denorm_mode_32 3
		.amdhsa_float_denorm_mode_16_64 3
		.amdhsa_dx10_clamp 1
		.amdhsa_ieee_mode 1
		.amdhsa_fp16_overflow 0
		.amdhsa_exception_fp_ieee_invalid_op 0
		.amdhsa_exception_fp_denorm_src 0
		.amdhsa_exception_fp_ieee_div_zero 0
		.amdhsa_exception_fp_ieee_overflow 0
		.amdhsa_exception_fp_ieee_underflow 0
		.amdhsa_exception_fp_ieee_inexact 0
		.amdhsa_exception_int_div_zero 0
	.end_amdhsa_kernel
	.text
.Lfunc_end0:
	.size	fft_rtc_back_len480_factors_10_8_6_wgs_64_tpt_16_halfLds_sp_ip_CI_unitstride_sbrr_R2C_dirReg, .Lfunc_end0-fft_rtc_back_len480_factors_10_8_6_wgs_64_tpt_16_halfLds_sp_ip_CI_unitstride_sbrr_R2C_dirReg
                                        ; -- End function
	.section	.AMDGPU.csdata,"",@progbits
; Kernel info:
; codeLenInByte = 12820
; NumSgprs: 26
; NumVgprs: 120
; ScratchSize: 0
; MemoryBound: 0
; FloatMode: 240
; IeeeMode: 1
; LDSByteSize: 0 bytes/workgroup (compile time only)
; SGPRBlocks: 3
; VGPRBlocks: 29
; NumSGPRsForWavesPerEU: 26
; NumVGPRsForWavesPerEU: 120
; Occupancy: 2
; WaveLimiterHint : 1
; COMPUTE_PGM_RSRC2:SCRATCH_EN: 0
; COMPUTE_PGM_RSRC2:USER_SGPR: 6
; COMPUTE_PGM_RSRC2:TRAP_HANDLER: 0
; COMPUTE_PGM_RSRC2:TGID_X_EN: 1
; COMPUTE_PGM_RSRC2:TGID_Y_EN: 0
; COMPUTE_PGM_RSRC2:TGID_Z_EN: 0
; COMPUTE_PGM_RSRC2:TIDIG_COMP_CNT: 0
	.type	__hip_cuid_9921c64af9b663db,@object ; @__hip_cuid_9921c64af9b663db
	.section	.bss,"aw",@nobits
	.globl	__hip_cuid_9921c64af9b663db
__hip_cuid_9921c64af9b663db:
	.byte	0                               ; 0x0
	.size	__hip_cuid_9921c64af9b663db, 1

	.ident	"AMD clang version 19.0.0git (https://github.com/RadeonOpenCompute/llvm-project roc-6.4.0 25133 c7fe45cf4b819c5991fe208aaa96edf142730f1d)"
	.section	".note.GNU-stack","",@progbits
	.addrsig
	.addrsig_sym __hip_cuid_9921c64af9b663db
	.amdgpu_metadata
---
amdhsa.kernels:
  - .args:
      - .actual_access:  read_only
        .address_space:  global
        .offset:         0
        .size:           8
        .value_kind:     global_buffer
      - .offset:         8
        .size:           8
        .value_kind:     by_value
      - .actual_access:  read_only
        .address_space:  global
        .offset:         16
        .size:           8
        .value_kind:     global_buffer
      - .actual_access:  read_only
        .address_space:  global
        .offset:         24
        .size:           8
        .value_kind:     global_buffer
      - .offset:         32
        .size:           8
        .value_kind:     by_value
      - .actual_access:  read_only
        .address_space:  global
        .offset:         40
        .size:           8
        .value_kind:     global_buffer
      - .actual_access:  read_only
        .address_space:  global
        .offset:         48
        .size:           8
        .value_kind:     global_buffer
      - .offset:         56
        .size:           4
        .value_kind:     by_value
      - .actual_access:  read_only
        .address_space:  global
        .offset:         64
        .size:           8
        .value_kind:     global_buffer
      - .actual_access:  read_only
        .address_space:  global
        .offset:         72
        .size:           8
        .value_kind:     global_buffer
      - .address_space:  global
        .offset:         80
        .size:           8
        .value_kind:     global_buffer
    .group_segment_fixed_size: 0
    .kernarg_segment_align: 8
    .kernarg_segment_size: 88
    .language:       OpenCL C
    .language_version:
      - 2
      - 0
    .max_flat_workgroup_size: 64
    .name:           fft_rtc_back_len480_factors_10_8_6_wgs_64_tpt_16_halfLds_sp_ip_CI_unitstride_sbrr_R2C_dirReg
    .private_segment_fixed_size: 0
    .sgpr_count:     26
    .sgpr_spill_count: 0
    .symbol:         fft_rtc_back_len480_factors_10_8_6_wgs_64_tpt_16_halfLds_sp_ip_CI_unitstride_sbrr_R2C_dirReg.kd
    .uniform_work_group_size: 1
    .uses_dynamic_stack: false
    .vgpr_count:     120
    .vgpr_spill_count: 0
    .wavefront_size: 64
amdhsa.target:   amdgcn-amd-amdhsa--gfx906
amdhsa.version:
  - 1
  - 2
...

	.end_amdgpu_metadata
